;; amdgpu-corpus repo=ROCm/bitsandbytes kind=harvested arch=n/a opt=n/a
	.text
	.amdgcn_target "amdgcn-amd-amdhsa--gfx90a"
	.amdhsa_code_object_version 6
	.protected	_Z26kgemm_4bit_inference_naiveI12hip_bfloat16Li128ELi16EEviiiPT_PhPfPKfS2_iiii ; -- Begin function _Z26kgemm_4bit_inference_naiveI12hip_bfloat16Li128ELi16EEviiiPT_PhPfPKfS2_iiii
	.globl	_Z26kgemm_4bit_inference_naiveI12hip_bfloat16Li128ELi16EEviiiPT_PhPfPKfS2_iiii
	.p2align	8
	.type	_Z26kgemm_4bit_inference_naiveI12hip_bfloat16Li128ELi16EEviiiPT_PhPfPKfS2_iiii,@function
_Z26kgemm_4bit_inference_naiveI12hip_bfloat16Li128ELi16EEviiiPT_PhPfPKfS2_iiii: ; @_Z26kgemm_4bit_inference_naiveI12hip_bfloat16Li128ELi16EEviiiPT_PhPfPKfS2_iiii
; %bb.0:
	s_load_dwordx2 s[16:17], s[4:5], 0x10
	s_load_dwordx8 s[8:15], s[4:5], 0x18
	v_cmp_gt_u32_e32 vcc, 16, v0
	s_and_saveexec_b64 s[0:1], vcc
	s_cbranch_execz .LBB29_6
; %bb.1:
	v_lshlrev_b32_e32 v1, 2, v0
	s_waitcnt lgkmcnt(0)
	global_load_dword v1, v1, s[12:13]
	s_mov_b32 s2, 0x7f800000
	s_waitcnt vmcnt(0)
	v_and_b32_e32 v2, 0x7f800000, v1
	v_cmp_ne_u32_e32 vcc, s2, v2
                                        ; implicit-def: $vgpr2
	s_and_saveexec_b64 s[2:3], vcc
	s_xor_b64 s[2:3], exec, s[2:3]
; %bb.2:
	v_bfe_u32 v2, v1, 16, 1
	s_movk_i32 s7, 0x7fff
	v_add3_u32 v2, v1, v2, s7
                                        ; implicit-def: $vgpr1
; %bb.3:
	s_andn2_saveexec_b64 s[2:3], s[2:3]
; %bb.4:
	v_mov_b32_e32 v2, 0
	v_or_b32_e32 v3, 0x10000, v1
	v_cmp_eq_u32_sdwa vcc, v1, v2 src0_sel:WORD_0 src1_sel:DWORD
	v_cndmask_b32_e32 v2, v3, v1, vcc
; %bb.5:
	s_or_b64 exec, exec, s[2:3]
	v_lshlrev_b32_e32 v1, 1, v0
	ds_write_b16_d16_hi v1, v2
.LBB29_6:
	s_or_b64 exec, exec, s[0:1]
	s_load_dword s22, s[4:5], 0x0
	s_load_dword s23, s[4:5], 0x8
	v_and_b32_e32 v9, 63, v0
	v_lshrrev_b32_e32 v1, 6, v0
	v_lshlrev_b32_e32 v18, 5, v9
	v_lshl_add_u32 v8, s6, 1, v1
	s_waitcnt lgkmcnt(0)
	v_cmp_gt_i32_e32 vcc, s23, v18
	v_mov_b32_e32 v25, 0
	s_barrier
	s_and_saveexec_b64 s[6:7], vcc
	s_cbranch_execz .LBB29_394
; %bb.7:
	s_load_dword s2, s[4:5], 0x3c
	s_load_dword s3, s[4:5], 0x44
	s_lshr_b32 s25, s23, 1
	s_add_i32 s26, s25, -16
	v_lshlrev_b32_e32 v0, 6, v9
	s_waitcnt lgkmcnt(0)
	v_mul_lo_u32 v19, v8, s2
	s_flbit_i32_b32 s2, s3
	s_min_u32 s2, s2, 32
	s_sub_i32 s24, 31, s2
	s_add_u32 s27, s8, 1
	s_addc_u32 s28, s9, 0
	s_add_u32 s29, s8, 2
	s_addc_u32 s30, s9, 0
	;; [unrolled: 2-line block ×16, first 2 shown]
	s_add_u32 s60, s16, 32
	v_mov_b32_e32 v1, s17
	v_add_co_u32_e32 v0, vcc, s16, v0
	s_addc_u32 s61, s17, 0
	v_addc_co_u32_e32 v1, vcc, 0, v1, vcc
	s_add_u32 s62, s16, 48
	v_add_co_u32_e32 v12, vcc, 62, v0
	v_cmp_gt_i32_e64 s[0:1], s22, v8
	v_lshlrev_b32_e32 v20, 1, v19
	s_addc_u32 s63, s17, 0
	v_mov_b32_e32 v11, 0
	v_addc_co_u32_e32 v13, vcc, 0, v1, vcc
	v_add_u32_e32 v23, 32, v18
	v_lshlrev_b32_e32 v21, 4, v9
	s_mov_b64 s[12:13], 0
	s_movk_i32 s64, 0xffe0
	v_mov_b32_e32 v22, s11
	s_mov_b32 s11, 0x7f800000
	s_movk_i32 s65, 0x7fff
	v_mov_b32_e32 v24, 1
	v_mov_b32_e32 v25, 0
	s_branch .LBB29_9
.LBB29_8:                               ;   in Loop: Header=BB29_9 Depth=1
	s_or_b64 exec, exec, s[2:3]
	v_and_b32_e32 v16, 0xffff0000, v16
	v_add_f32_e32 v16, v25, v16
	v_and_b32_e32 v17, 0xffff0000, v17
	v_add_f32_e32 v16, v16, v17
	;; [unrolled: 2-line block ×31, first 2 shown]
	v_and_b32_e32 v1, 0xffff0000, v10
	v_add_co_u32_e32 v12, vcc, 0x1000, v12
	v_add_f32_e32 v25, v0, v1
	v_addc_co_u32_e32 v13, vcc, 0, v13, vcc
	v_add_u32_e32 v1, 0x7e0, v23
	v_add_u32_e32 v0, 0x800, v23
	v_cmp_le_i32_e32 vcc, s23, v1
	v_add_u32_e32 v18, 0x800, v18
	v_add_u32_e32 v21, 0x400, v21
	s_or_b64 s[12:13], vcc, s[12:13]
	v_mov_b32_e32 v23, v0
	s_andn2_b64 exec, exec, s[12:13]
	s_cbranch_execz .LBB29_393
.LBB29_9:                               ; =>This Inner Loop Header: Depth=1
	v_add3_u32 v0, v20, v23, s64
	v_ashrrev_i32_e32 v0, s24, v0
	v_ashrrev_i32_e32 v1, 31, v0
	v_lshlrev_b64 v[0:1], 2, v[0:1]
	v_add_co_u32_e32 v0, vcc, s10, v0
	v_addc_co_u32_e32 v1, vcc, v22, v1, vcc
	global_load_dword v0, v[0:1], off
                                        ; implicit-def: $vgpr17
	s_waitcnt vmcnt(0)
	v_and_b32_e32 v1, 0x7f800000, v0
	v_cmp_ne_u32_e32 vcc, s11, v1
	s_and_saveexec_b64 s[2:3], vcc
	s_xor_b64 s[2:3], exec, s[2:3]
; %bb.10:                               ;   in Loop: Header=BB29_9 Depth=1
	v_bfe_u32 v1, v0, 16, 1
	v_add3_u32 v17, v0, v1, s65
                                        ; implicit-def: $vgpr0
; %bb.11:                               ;   in Loop: Header=BB29_9 Depth=1
	s_andn2_saveexec_b64 s[2:3], s[2:3]
; %bb.12:                               ;   in Loop: Header=BB29_9 Depth=1
	v_or_b32_e32 v1, 0x10000, v0
	v_cmp_eq_u32_sdwa vcc, v0, v11 src0_sel:WORD_0 src1_sel:DWORD
	v_cndmask_b32_e32 v17, v1, v0, vcc
; %bb.13:                               ;   in Loop: Header=BB29_9 Depth=1
	s_or_b64 exec, exec, s[2:3]
	v_mov_b32_e32 v27, 0x77
	v_mov_b32_e32 v15, 0x77
	;; [unrolled: 1-line block ×16, first 2 shown]
	s_and_saveexec_b64 s[2:3], s[0:1]
	s_cbranch_execz .LBB29_19
; %bb.14:                               ;   in Loop: Header=BB29_9 Depth=1
	v_add_u32_e32 v5, v19, v21
	v_cmp_le_i32_e32 vcc, s26, v21
	s_mov_b64 s[18:19], 0
	v_ashrrev_i32_e32 v27, 31, v5
                                        ; implicit-def: $vgpr0
                                        ; implicit-def: $vgpr16
                                        ; implicit-def: $vgpr10
                                        ; implicit-def: $vgpr4
                                        ; implicit-def: $vgpr39
                                        ; implicit-def: $vgpr38
                                        ; implicit-def: $vgpr37
                                        ; implicit-def: $vgpr36
                                        ; implicit-def: $vgpr35
                                        ; implicit-def: $vgpr14
                                        ; implicit-def: $vgpr26
                                        ; implicit-def: $vgpr15
                                        ; implicit-def: $sgpr20
                                        ; implicit-def: $vgpr6_vgpr7
	s_and_saveexec_b64 s[4:5], vcc
	s_xor_b64 s[4:5], exec, s[4:5]
	s_cbranch_execnz .LBB29_359
; %bb.15:                               ;   in Loop: Header=BB29_9 Depth=1
	s_andn2_saveexec_b64 s[4:5], s[4:5]
	s_cbranch_execnz .LBB29_392
.LBB29_16:                              ;   in Loop: Header=BB29_9 Depth=1
	s_or_b64 exec, exec, s[4:5]
	v_mov_b32_e32 v27, s20
	s_and_saveexec_b64 s[4:5], s[18:19]
	s_cbranch_execz .LBB29_18
.LBB29_17:                              ;   in Loop: Header=BB29_9 Depth=1
	global_load_ubyte v27, v[6:7], off
.LBB29_18:                              ;   in Loop: Header=BB29_9 Depth=1
	s_or_b64 exec, exec, s[4:5]
.LBB29_19:                              ;   in Loop: Header=BB29_9 Depth=1
	s_or_b64 exec, exec, s[2:3]
	s_waitcnt vmcnt(0)
	v_lshrrev_b16_e32 v5, 4, v0
	v_and_b32_e32 v5, 15, v5
	v_lshlrev_b32_sdwa v5, v24, v5 dst_sel:DWORD dst_unused:UNUSED_PAD src0_sel:DWORD src1_sel:WORD_0
	ds_read_u16 v5, v5
	v_and_b32_e32 v28, 0xffff0000, v17
                                        ; implicit-def: $vgpr29
	s_waitcnt lgkmcnt(0)
	v_lshlrev_b32_e32 v5, 16, v5
	v_mul_f32_e32 v5, v28, v5
	v_and_b32_e32 v6, 0x7f800000, v5
	v_cmp_ne_u32_e32 vcc, s11, v6
	s_and_saveexec_b64 s[2:3], vcc
	s_xor_b64 s[2:3], exec, s[2:3]
; %bb.20:                               ;   in Loop: Header=BB29_9 Depth=1
	v_bfe_u32 v6, v5, 16, 1
	v_add3_u32 v29, v5, v6, s65
                                        ; implicit-def: $vgpr5
; %bb.21:                               ;   in Loop: Header=BB29_9 Depth=1
	s_andn2_saveexec_b64 s[2:3], s[2:3]
; %bb.22:                               ;   in Loop: Header=BB29_9 Depth=1
	v_or_b32_e32 v6, 0x10000, v5
	v_cmp_eq_u32_sdwa vcc, v5, v11 src0_sel:WORD_0 src1_sel:DWORD
	v_cndmask_b32_e32 v29, v6, v5, vcc
; %bb.23:                               ;   in Loop: Header=BB29_9 Depth=1
	s_or_b64 exec, exec, s[2:3]
	v_and_b32_e32 v0, 15, v0
	v_lshlrev_b32_e32 v0, 1, v0
	ds_read_u16 v0, v0
	s_waitcnt lgkmcnt(0)
	v_lshlrev_b32_e32 v0, 16, v0
	v_mul_f32_e32 v5, v28, v0
	v_and_b32_e32 v0, 0x7f800000, v5
	v_cmp_ne_u32_e32 vcc, s11, v0
                                        ; implicit-def: $vgpr0
	s_and_saveexec_b64 s[2:3], vcc
	s_xor_b64 s[2:3], exec, s[2:3]
; %bb.24:                               ;   in Loop: Header=BB29_9 Depth=1
	v_bfe_u32 v0, v5, 16, 1
	v_add3_u32 v0, v5, v0, s65
                                        ; implicit-def: $vgpr5
; %bb.25:                               ;   in Loop: Header=BB29_9 Depth=1
	s_andn2_saveexec_b64 s[2:3], s[2:3]
; %bb.26:                               ;   in Loop: Header=BB29_9 Depth=1
	v_or_b32_e32 v0, 0x10000, v5
	v_cmp_eq_u32_sdwa vcc, v5, v11 src0_sel:WORD_0 src1_sel:DWORD
	v_cndmask_b32_e32 v0, v0, v5, vcc
; %bb.27:                               ;   in Loop: Header=BB29_9 Depth=1
	s_or_b64 exec, exec, s[2:3]
	v_lshrrev_b16_e32 v5, 4, v16
	v_and_b32_e32 v5, 15, v5
	v_lshlrev_b32_sdwa v5, v24, v5 dst_sel:DWORD dst_unused:UNUSED_PAD src0_sel:DWORD src1_sel:WORD_0
	ds_read_u16 v5, v5
                                        ; implicit-def: $vgpr30
	s_waitcnt lgkmcnt(0)
	v_lshlrev_b32_e32 v5, 16, v5
	v_mul_f32_e32 v5, v28, v5
	v_and_b32_e32 v6, 0x7f800000, v5
	v_cmp_ne_u32_e32 vcc, s11, v6
	s_and_saveexec_b64 s[2:3], vcc
	s_xor_b64 s[2:3], exec, s[2:3]
; %bb.28:                               ;   in Loop: Header=BB29_9 Depth=1
	v_bfe_u32 v6, v5, 16, 1
	v_add3_u32 v30, v5, v6, s65
                                        ; implicit-def: $vgpr5
; %bb.29:                               ;   in Loop: Header=BB29_9 Depth=1
	s_andn2_saveexec_b64 s[2:3], s[2:3]
; %bb.30:                               ;   in Loop: Header=BB29_9 Depth=1
	v_or_b32_e32 v6, 0x10000, v5
	v_cmp_eq_u32_sdwa vcc, v5, v11 src0_sel:WORD_0 src1_sel:DWORD
	v_cndmask_b32_e32 v30, v6, v5, vcc
; %bb.31:                               ;   in Loop: Header=BB29_9 Depth=1
	s_or_b64 exec, exec, s[2:3]
	v_and_b32_e32 v5, 15, v16
	v_lshlrev_b32_e32 v5, 1, v5
	ds_read_u16 v5, v5
                                        ; implicit-def: $vgpr31
	s_waitcnt lgkmcnt(0)
	v_lshlrev_b32_e32 v5, 16, v5
	v_mul_f32_e32 v5, v28, v5
	v_and_b32_e32 v6, 0x7f800000, v5
	v_cmp_ne_u32_e32 vcc, s11, v6
	s_and_saveexec_b64 s[2:3], vcc
	s_xor_b64 s[2:3], exec, s[2:3]
; %bb.32:                               ;   in Loop: Header=BB29_9 Depth=1
	v_bfe_u32 v6, v5, 16, 1
	v_add3_u32 v31, v5, v6, s65
                                        ; implicit-def: $vgpr5
; %bb.33:                               ;   in Loop: Header=BB29_9 Depth=1
	s_andn2_saveexec_b64 s[2:3], s[2:3]
; %bb.34:                               ;   in Loop: Header=BB29_9 Depth=1
	v_or_b32_e32 v6, 0x10000, v5
	v_cmp_eq_u32_sdwa vcc, v5, v11 src0_sel:WORD_0 src1_sel:DWORD
	v_cndmask_b32_e32 v31, v6, v5, vcc
; %bb.35:                               ;   in Loop: Header=BB29_9 Depth=1
	s_or_b64 exec, exec, s[2:3]
	v_lshrrev_b16_e32 v5, 4, v10
	v_and_b32_e32 v5, 15, v5
	v_lshlrev_b32_sdwa v5, v24, v5 dst_sel:DWORD dst_unused:UNUSED_PAD src0_sel:DWORD src1_sel:WORD_0
	ds_read_u16 v5, v5
                                        ; implicit-def: $vgpr32
	s_waitcnt lgkmcnt(0)
	v_lshlrev_b32_e32 v5, 16, v5
	v_mul_f32_e32 v5, v28, v5
	v_and_b32_e32 v6, 0x7f800000, v5
	v_cmp_ne_u32_e32 vcc, s11, v6
	s_and_saveexec_b64 s[2:3], vcc
	s_xor_b64 s[2:3], exec, s[2:3]
; %bb.36:                               ;   in Loop: Header=BB29_9 Depth=1
	v_bfe_u32 v6, v5, 16, 1
	v_add3_u32 v32, v5, v6, s65
                                        ; implicit-def: $vgpr5
; %bb.37:                               ;   in Loop: Header=BB29_9 Depth=1
	s_andn2_saveexec_b64 s[2:3], s[2:3]
; %bb.38:                               ;   in Loop: Header=BB29_9 Depth=1
	v_or_b32_e32 v6, 0x10000, v5
	v_cmp_eq_u32_sdwa vcc, v5, v11 src0_sel:WORD_0 src1_sel:DWORD
	v_cndmask_b32_e32 v32, v6, v5, vcc
; %bb.39:                               ;   in Loop: Header=BB29_9 Depth=1
	s_or_b64 exec, exec, s[2:3]
	v_and_b32_e32 v5, 15, v10
	v_lshlrev_b32_e32 v5, 1, v5
	ds_read_u16 v5, v5
                                        ; implicit-def: $vgpr33
	s_waitcnt lgkmcnt(0)
	v_lshlrev_b32_e32 v5, 16, v5
	v_mul_f32_e32 v5, v28, v5
	v_and_b32_e32 v6, 0x7f800000, v5
	v_cmp_ne_u32_e32 vcc, s11, v6
	s_and_saveexec_b64 s[2:3], vcc
	s_xor_b64 s[2:3], exec, s[2:3]
; %bb.40:                               ;   in Loop: Header=BB29_9 Depth=1
	v_bfe_u32 v6, v5, 16, 1
	v_add3_u32 v33, v5, v6, s65
                                        ; implicit-def: $vgpr5
; %bb.41:                               ;   in Loop: Header=BB29_9 Depth=1
	s_andn2_saveexec_b64 s[2:3], s[2:3]
; %bb.42:                               ;   in Loop: Header=BB29_9 Depth=1
	v_or_b32_e32 v6, 0x10000, v5
	v_cmp_eq_u32_sdwa vcc, v5, v11 src0_sel:WORD_0 src1_sel:DWORD
	v_cndmask_b32_e32 v33, v6, v5, vcc
; %bb.43:                               ;   in Loop: Header=BB29_9 Depth=1
	s_or_b64 exec, exec, s[2:3]
	v_lshrrev_b16_e32 v5, 4, v4
	v_and_b32_e32 v5, 15, v5
	v_lshlrev_b32_sdwa v5, v24, v5 dst_sel:DWORD dst_unused:UNUSED_PAD src0_sel:DWORD src1_sel:WORD_0
	ds_read_u16 v5, v5
                                        ; implicit-def: $vgpr34
	s_waitcnt lgkmcnt(0)
	v_lshlrev_b32_e32 v5, 16, v5
	v_mul_f32_e32 v5, v28, v5
	v_and_b32_e32 v6, 0x7f800000, v5
	v_cmp_ne_u32_e32 vcc, s11, v6
	s_and_saveexec_b64 s[2:3], vcc
	s_xor_b64 s[2:3], exec, s[2:3]
; %bb.44:                               ;   in Loop: Header=BB29_9 Depth=1
	v_bfe_u32 v6, v5, 16, 1
	v_add3_u32 v34, v5, v6, s65
                                        ; implicit-def: $vgpr5
; %bb.45:                               ;   in Loop: Header=BB29_9 Depth=1
	s_andn2_saveexec_b64 s[2:3], s[2:3]
; %bb.46:                               ;   in Loop: Header=BB29_9 Depth=1
	v_or_b32_e32 v6, 0x10000, v5
	v_cmp_eq_u32_sdwa vcc, v5, v11 src0_sel:WORD_0 src1_sel:DWORD
	v_cndmask_b32_e32 v34, v6, v5, vcc
; %bb.47:                               ;   in Loop: Header=BB29_9 Depth=1
	s_or_b64 exec, exec, s[2:3]
	v_and_b32_e32 v4, 15, v4
	v_lshlrev_b32_e32 v4, 1, v4
	ds_read_u16 v4, v4
                                        ; implicit-def: $vgpr40
	s_waitcnt lgkmcnt(0)
	v_lshlrev_b32_e32 v4, 16, v4
	v_mul_f32_e32 v4, v28, v4
	v_and_b32_e32 v5, 0x7f800000, v4
	v_cmp_ne_u32_e32 vcc, s11, v5
	s_and_saveexec_b64 s[2:3], vcc
	s_xor_b64 s[2:3], exec, s[2:3]
; %bb.48:                               ;   in Loop: Header=BB29_9 Depth=1
	v_bfe_u32 v5, v4, 16, 1
	v_add3_u32 v40, v4, v5, s65
                                        ; implicit-def: $vgpr4
; %bb.49:                               ;   in Loop: Header=BB29_9 Depth=1
	s_andn2_saveexec_b64 s[2:3], s[2:3]
; %bb.50:                               ;   in Loop: Header=BB29_9 Depth=1
	v_or_b32_e32 v5, 0x10000, v4
	v_cmp_eq_u32_sdwa vcc, v4, v11 src0_sel:WORD_0 src1_sel:DWORD
	v_cndmask_b32_e32 v40, v5, v4, vcc
; %bb.51:                               ;   in Loop: Header=BB29_9 Depth=1
	s_or_b64 exec, exec, s[2:3]
	v_subrev_u32_e32 v4, 24, v23
	v_cmp_gt_i32_e64 s[4:5], s23, v4
	v_cmp_le_i32_e32 vcc, s23, v4
	s_mov_b64 s[18:19], 0
                                        ; implicit-def: $vgpr4
                                        ; implicit-def: $vgpr43
                                        ; implicit-def: $vgpr42
                                        ; implicit-def: $vgpr41
                                        ; implicit-def: $vgpr16_vgpr17
                                        ; implicit-def: $sgpr20
	s_and_saveexec_b64 s[2:3], vcc
	s_xor_b64 s[2:3], exec, s[2:3]
	s_cbranch_execnz .LBB29_291
; %bb.52:                               ;   in Loop: Header=BB29_9 Depth=1
	s_or_saveexec_b64 s[2:3], s[2:3]
	v_lshrrev_b32_e32 v10, 3, v18
	s_xor_b64 exec, exec, s[2:3]
	s_cbranch_execnz .LBB29_306
.LBB29_53:                              ;   in Loop: Header=BB29_9 Depth=1
	s_or_b64 exec, exec, s[2:3]
	v_mov_b32_e32 v44, s20
	s_and_saveexec_b64 s[2:3], s[18:19]
	s_cbranch_execz .LBB29_55
.LBB29_54:                              ;   in Loop: Header=BB29_9 Depth=1
	global_load_ushort v44, v[16:17], off
.LBB29_55:                              ;   in Loop: Header=BB29_9 Depth=1
	s_or_b64 exec, exec, s[2:3]
	v_and_b32_e32 v16, 0xffff0000, v29
	s_waitcnt vmcnt(0)
	v_lshlrev_b32_e32 v4, 16, v4
	v_mul_f32_e32 v4, v4, v16
	v_and_b32_e32 v16, 0x7f800000, v4
	v_cmp_ne_u32_e32 vcc, s11, v16
                                        ; implicit-def: $vgpr16
	s_and_saveexec_b64 s[2:3], vcc
	s_xor_b64 s[2:3], exec, s[2:3]
; %bb.56:                               ;   in Loop: Header=BB29_9 Depth=1
	v_bfe_u32 v16, v4, 16, 1
	v_add3_u32 v16, v4, v16, s65
                                        ; implicit-def: $vgpr4
; %bb.57:                               ;   in Loop: Header=BB29_9 Depth=1
	s_andn2_saveexec_b64 s[2:3], s[2:3]
; %bb.58:                               ;   in Loop: Header=BB29_9 Depth=1
	v_or_b32_e32 v16, 0x10000, v4
	v_cmp_eq_u32_sdwa vcc, v4, v11 src0_sel:WORD_0 src1_sel:DWORD
	v_cndmask_b32_e32 v16, v16, v4, vcc
; %bb.59:                               ;   in Loop: Header=BB29_9 Depth=1
	s_or_b64 exec, exec, s[2:3]
	v_and_b32_e32 v0, 0xffff0000, v0
	v_lshlrev_b32_e32 v4, 16, v43
	v_mul_f32_e32 v0, v4, v0
	v_and_b32_e32 v4, 0x7f800000, v0
	v_cmp_ne_u32_e32 vcc, s11, v4
                                        ; implicit-def: $vgpr17
	s_and_saveexec_b64 s[2:3], vcc
	s_xor_b64 s[2:3], exec, s[2:3]
; %bb.60:                               ;   in Loop: Header=BB29_9 Depth=1
	v_bfe_u32 v4, v0, 16, 1
	v_add3_u32 v17, v0, v4, s65
                                        ; implicit-def: $vgpr0
; %bb.61:                               ;   in Loop: Header=BB29_9 Depth=1
	s_andn2_saveexec_b64 s[2:3], s[2:3]
; %bb.62:                               ;   in Loop: Header=BB29_9 Depth=1
	v_or_b32_e32 v4, 0x10000, v0
	v_cmp_eq_u32_sdwa vcc, v0, v11 src0_sel:WORD_0 src1_sel:DWORD
	v_cndmask_b32_e32 v17, v4, v0, vcc
; %bb.63:                               ;   in Loop: Header=BB29_9 Depth=1
	s_or_b64 exec, exec, s[2:3]
	v_and_b32_e32 v0, 0xffff0000, v30
	v_lshlrev_b32_e32 v4, 16, v5
	v_mul_f32_e32 v0, v4, v0
	v_and_b32_e32 v4, 0x7f800000, v0
	v_cmp_ne_u32_e32 vcc, s11, v4
                                        ; implicit-def: $vgpr29
	s_and_saveexec_b64 s[2:3], vcc
	s_xor_b64 s[2:3], exec, s[2:3]
; %bb.64:                               ;   in Loop: Header=BB29_9 Depth=1
	v_bfe_u32 v4, v0, 16, 1
	v_add3_u32 v29, v0, v4, s65
                                        ; implicit-def: $vgpr0
; %bb.65:                               ;   in Loop: Header=BB29_9 Depth=1
	s_andn2_saveexec_b64 s[2:3], s[2:3]
; %bb.66:                               ;   in Loop: Header=BB29_9 Depth=1
	v_or_b32_e32 v4, 0x10000, v0
	v_cmp_eq_u32_sdwa vcc, v0, v11 src0_sel:WORD_0 src1_sel:DWORD
	v_cndmask_b32_e32 v29, v4, v0, vcc
; %bb.67:                               ;   in Loop: Header=BB29_9 Depth=1
	s_or_b64 exec, exec, s[2:3]
	v_and_b32_e32 v0, 0xffff0000, v31
	v_lshlrev_b32_e32 v4, 16, v42
	v_mul_f32_e32 v0, v4, v0
	v_and_b32_e32 v4, 0x7f800000, v0
	v_cmp_ne_u32_e32 vcc, s11, v4
                                        ; implicit-def: $vgpr30
	s_and_saveexec_b64 s[2:3], vcc
	s_xor_b64 s[2:3], exec, s[2:3]
; %bb.68:                               ;   in Loop: Header=BB29_9 Depth=1
	v_bfe_u32 v4, v0, 16, 1
	v_add3_u32 v30, v0, v4, s65
                                        ; implicit-def: $vgpr0
; %bb.69:                               ;   in Loop: Header=BB29_9 Depth=1
	s_andn2_saveexec_b64 s[2:3], s[2:3]
; %bb.70:                               ;   in Loop: Header=BB29_9 Depth=1
	v_or_b32_e32 v4, 0x10000, v0
	v_cmp_eq_u32_sdwa vcc, v0, v11 src0_sel:WORD_0 src1_sel:DWORD
	v_cndmask_b32_e32 v30, v4, v0, vcc
; %bb.71:                               ;   in Loop: Header=BB29_9 Depth=1
	s_or_b64 exec, exec, s[2:3]
	v_and_b32_e32 v0, 0xffff0000, v32
	v_lshlrev_b32_e32 v4, 16, v6
	v_mul_f32_e32 v0, v4, v0
	v_and_b32_e32 v4, 0x7f800000, v0
	v_cmp_ne_u32_e32 vcc, s11, v4
                                        ; implicit-def: $vgpr31
	s_and_saveexec_b64 s[2:3], vcc
	s_xor_b64 s[2:3], exec, s[2:3]
; %bb.72:                               ;   in Loop: Header=BB29_9 Depth=1
	v_bfe_u32 v4, v0, 16, 1
	v_add3_u32 v31, v0, v4, s65
                                        ; implicit-def: $vgpr0
; %bb.73:                               ;   in Loop: Header=BB29_9 Depth=1
	s_andn2_saveexec_b64 s[2:3], s[2:3]
; %bb.74:                               ;   in Loop: Header=BB29_9 Depth=1
	v_or_b32_e32 v4, 0x10000, v0
	v_cmp_eq_u32_sdwa vcc, v0, v11 src0_sel:WORD_0 src1_sel:DWORD
	v_cndmask_b32_e32 v31, v4, v0, vcc
; %bb.75:                               ;   in Loop: Header=BB29_9 Depth=1
	s_or_b64 exec, exec, s[2:3]
	v_and_b32_e32 v0, 0xffff0000, v33
	v_lshlrev_b32_e32 v4, 16, v41
	v_mul_f32_e32 v0, v4, v0
	v_and_b32_e32 v4, 0x7f800000, v0
	v_cmp_ne_u32_e32 vcc, s11, v4
                                        ; implicit-def: $vgpr32
	s_and_saveexec_b64 s[2:3], vcc
	s_xor_b64 s[2:3], exec, s[2:3]
; %bb.76:                               ;   in Loop: Header=BB29_9 Depth=1
	v_bfe_u32 v4, v0, 16, 1
	v_add3_u32 v32, v0, v4, s65
                                        ; implicit-def: $vgpr0
; %bb.77:                               ;   in Loop: Header=BB29_9 Depth=1
	s_andn2_saveexec_b64 s[2:3], s[2:3]
; %bb.78:                               ;   in Loop: Header=BB29_9 Depth=1
	v_or_b32_e32 v4, 0x10000, v0
	v_cmp_eq_u32_sdwa vcc, v0, v11 src0_sel:WORD_0 src1_sel:DWORD
	v_cndmask_b32_e32 v32, v4, v0, vcc
; %bb.79:                               ;   in Loop: Header=BB29_9 Depth=1
	s_or_b64 exec, exec, s[2:3]
	v_and_b32_e32 v0, 0xffff0000, v34
	v_lshlrev_b32_e32 v4, 16, v7
	v_mul_f32_e32 v0, v4, v0
	v_and_b32_e32 v4, 0x7f800000, v0
	v_cmp_ne_u32_e32 vcc, s11, v4
                                        ; implicit-def: $vgpr33
	s_and_saveexec_b64 s[2:3], vcc
	s_xor_b64 s[2:3], exec, s[2:3]
; %bb.80:                               ;   in Loop: Header=BB29_9 Depth=1
	v_bfe_u32 v4, v0, 16, 1
	v_add3_u32 v33, v0, v4, s65
                                        ; implicit-def: $vgpr0
; %bb.81:                               ;   in Loop: Header=BB29_9 Depth=1
	s_andn2_saveexec_b64 s[2:3], s[2:3]
; %bb.82:                               ;   in Loop: Header=BB29_9 Depth=1
	v_or_b32_e32 v4, 0x10000, v0
	v_cmp_eq_u32_sdwa vcc, v0, v11 src0_sel:WORD_0 src1_sel:DWORD
	v_cndmask_b32_e32 v33, v4, v0, vcc
; %bb.83:                               ;   in Loop: Header=BB29_9 Depth=1
	s_or_b64 exec, exec, s[2:3]
	v_and_b32_e32 v0, 0xffff0000, v40
	v_lshlrev_b32_e32 v4, 16, v44
	v_mul_f32_e32 v0, v4, v0
	v_and_b32_e32 v4, 0x7f800000, v0
	v_cmp_ne_u32_e32 vcc, s11, v4
                                        ; implicit-def: $vgpr34
	s_and_saveexec_b64 s[2:3], vcc
	s_xor_b64 s[2:3], exec, s[2:3]
; %bb.84:                               ;   in Loop: Header=BB29_9 Depth=1
	v_bfe_u32 v4, v0, 16, 1
	v_add3_u32 v34, v0, v4, s65
                                        ; implicit-def: $vgpr0
; %bb.85:                               ;   in Loop: Header=BB29_9 Depth=1
	s_andn2_saveexec_b64 s[2:3], s[2:3]
; %bb.86:                               ;   in Loop: Header=BB29_9 Depth=1
	v_or_b32_e32 v4, 0x10000, v0
	v_cmp_eq_u32_sdwa vcc, v0, v11 src0_sel:WORD_0 src1_sel:DWORD
	v_cndmask_b32_e32 v34, v4, v0, vcc
; %bb.87:                               ;   in Loop: Header=BB29_9 Depth=1
	s_or_b64 exec, exec, s[2:3]
	v_lshrrev_b16_e32 v0, 4, v1
	v_and_b32_e32 v0, 15, v0
	v_lshlrev_b32_sdwa v0, v24, v0 dst_sel:DWORD dst_unused:UNUSED_PAD src0_sel:DWORD src1_sel:WORD_0
	ds_read_u16 v0, v0
                                        ; implicit-def: $vgpr40
	s_waitcnt lgkmcnt(0)
	v_lshlrev_b32_e32 v0, 16, v0
	v_mul_f32_e32 v0, v28, v0
	v_and_b32_e32 v4, 0x7f800000, v0
	v_cmp_ne_u32_e32 vcc, s11, v4
	s_and_saveexec_b64 s[2:3], vcc
	s_xor_b64 s[2:3], exec, s[2:3]
; %bb.88:                               ;   in Loop: Header=BB29_9 Depth=1
	v_bfe_u32 v4, v0, 16, 1
	v_add3_u32 v40, v0, v4, s65
                                        ; implicit-def: $vgpr0
; %bb.89:                               ;   in Loop: Header=BB29_9 Depth=1
	s_andn2_saveexec_b64 s[2:3], s[2:3]
; %bb.90:                               ;   in Loop: Header=BB29_9 Depth=1
	v_or_b32_e32 v4, 0x10000, v0
	v_cmp_eq_u32_sdwa vcc, v0, v11 src0_sel:WORD_0 src1_sel:DWORD
	v_cndmask_b32_e32 v40, v4, v0, vcc
; %bb.91:                               ;   in Loop: Header=BB29_9 Depth=1
	s_or_b64 exec, exec, s[2:3]
	v_and_b32_e32 v0, 15, v1
	v_lshlrev_b32_e32 v0, 1, v0
	ds_read_u16 v0, v0
                                        ; implicit-def: $vgpr41
	s_waitcnt lgkmcnt(0)
	v_lshlrev_b32_e32 v0, 16, v0
	v_mul_f32_e32 v0, v28, v0
	v_and_b32_e32 v1, 0x7f800000, v0
	v_cmp_ne_u32_e32 vcc, s11, v1
	s_and_saveexec_b64 s[2:3], vcc
	s_xor_b64 s[2:3], exec, s[2:3]
; %bb.92:                               ;   in Loop: Header=BB29_9 Depth=1
	v_bfe_u32 v1, v0, 16, 1
	v_add3_u32 v41, v0, v1, s65
                                        ; implicit-def: $vgpr0
; %bb.93:                               ;   in Loop: Header=BB29_9 Depth=1
	s_andn2_saveexec_b64 s[2:3], s[2:3]
; %bb.94:                               ;   in Loop: Header=BB29_9 Depth=1
	v_or_b32_e32 v1, 0x10000, v0
	v_cmp_eq_u32_sdwa vcc, v0, v11 src0_sel:WORD_0 src1_sel:DWORD
	v_cndmask_b32_e32 v41, v1, v0, vcc
; %bb.95:                               ;   in Loop: Header=BB29_9 Depth=1
	s_or_b64 exec, exec, s[2:3]
	v_lshrrev_b16_e32 v0, 4, v39
	v_and_b32_e32 v0, 15, v0
	v_lshlrev_b32_sdwa v0, v24, v0 dst_sel:DWORD dst_unused:UNUSED_PAD src0_sel:DWORD src1_sel:WORD_0
	ds_read_u16 v0, v0
                                        ; implicit-def: $vgpr42
	s_waitcnt lgkmcnt(0)
	v_lshlrev_b32_e32 v0, 16, v0
	v_mul_f32_e32 v0, v28, v0
	v_and_b32_e32 v1, 0x7f800000, v0
	v_cmp_ne_u32_e32 vcc, s11, v1
	s_and_saveexec_b64 s[2:3], vcc
	s_xor_b64 s[2:3], exec, s[2:3]
; %bb.96:                               ;   in Loop: Header=BB29_9 Depth=1
	v_bfe_u32 v1, v0, 16, 1
	v_add3_u32 v42, v0, v1, s65
                                        ; implicit-def: $vgpr0
; %bb.97:                               ;   in Loop: Header=BB29_9 Depth=1
	s_andn2_saveexec_b64 s[2:3], s[2:3]
; %bb.98:                               ;   in Loop: Header=BB29_9 Depth=1
	v_or_b32_e32 v1, 0x10000, v0
	v_cmp_eq_u32_sdwa vcc, v0, v11 src0_sel:WORD_0 src1_sel:DWORD
	v_cndmask_b32_e32 v42, v1, v0, vcc
; %bb.99:                               ;   in Loop: Header=BB29_9 Depth=1
	s_or_b64 exec, exec, s[2:3]
	v_and_b32_e32 v0, 15, v39
	v_lshlrev_b32_e32 v0, 1, v0
	ds_read_u16 v0, v0
                                        ; implicit-def: $vgpr43
	s_waitcnt lgkmcnt(0)
	v_lshlrev_b32_e32 v0, 16, v0
	v_mul_f32_e32 v0, v28, v0
	v_and_b32_e32 v1, 0x7f800000, v0
	v_cmp_ne_u32_e32 vcc, s11, v1
	s_and_saveexec_b64 s[2:3], vcc
	s_xor_b64 s[2:3], exec, s[2:3]
; %bb.100:                              ;   in Loop: Header=BB29_9 Depth=1
	v_bfe_u32 v1, v0, 16, 1
	v_add3_u32 v43, v0, v1, s65
                                        ; implicit-def: $vgpr0
; %bb.101:                              ;   in Loop: Header=BB29_9 Depth=1
	s_andn2_saveexec_b64 s[2:3], s[2:3]
; %bb.102:                              ;   in Loop: Header=BB29_9 Depth=1
	v_or_b32_e32 v1, 0x10000, v0
	v_cmp_eq_u32_sdwa vcc, v0, v11 src0_sel:WORD_0 src1_sel:DWORD
	v_cndmask_b32_e32 v43, v1, v0, vcc
; %bb.103:                              ;   in Loop: Header=BB29_9 Depth=1
	s_or_b64 exec, exec, s[2:3]
	v_lshrrev_b16_e32 v0, 4, v38
	v_and_b32_e32 v0, 15, v0
	v_lshlrev_b32_sdwa v0, v24, v0 dst_sel:DWORD dst_unused:UNUSED_PAD src0_sel:DWORD src1_sel:WORD_0
	ds_read_u16 v0, v0
                                        ; implicit-def: $vgpr44
	s_waitcnt lgkmcnt(0)
	v_lshlrev_b32_e32 v0, 16, v0
	v_mul_f32_e32 v0, v28, v0
	v_and_b32_e32 v1, 0x7f800000, v0
	v_cmp_ne_u32_e32 vcc, s11, v1
	s_and_saveexec_b64 s[2:3], vcc
	s_xor_b64 s[2:3], exec, s[2:3]
; %bb.104:                              ;   in Loop: Header=BB29_9 Depth=1
	v_bfe_u32 v1, v0, 16, 1
	v_add3_u32 v44, v0, v1, s65
                                        ; implicit-def: $vgpr0
; %bb.105:                              ;   in Loop: Header=BB29_9 Depth=1
	s_andn2_saveexec_b64 s[2:3], s[2:3]
; %bb.106:                              ;   in Loop: Header=BB29_9 Depth=1
	v_or_b32_e32 v1, 0x10000, v0
	v_cmp_eq_u32_sdwa vcc, v0, v11 src0_sel:WORD_0 src1_sel:DWORD
	v_cndmask_b32_e32 v44, v1, v0, vcc
; %bb.107:                              ;   in Loop: Header=BB29_9 Depth=1
	s_or_b64 exec, exec, s[2:3]
	v_and_b32_e32 v0, 15, v38
	v_lshlrev_b32_e32 v0, 1, v0
	ds_read_u16 v0, v0
                                        ; implicit-def: $vgpr45
	s_waitcnt lgkmcnt(0)
	v_lshlrev_b32_e32 v0, 16, v0
	v_mul_f32_e32 v0, v28, v0
	v_and_b32_e32 v1, 0x7f800000, v0
	v_cmp_ne_u32_e32 vcc, s11, v1
	s_and_saveexec_b64 s[2:3], vcc
	s_xor_b64 s[2:3], exec, s[2:3]
; %bb.108:                              ;   in Loop: Header=BB29_9 Depth=1
	v_bfe_u32 v1, v0, 16, 1
	v_add3_u32 v45, v0, v1, s65
                                        ; implicit-def: $vgpr0
; %bb.109:                              ;   in Loop: Header=BB29_9 Depth=1
	s_andn2_saveexec_b64 s[2:3], s[2:3]
; %bb.110:                              ;   in Loop: Header=BB29_9 Depth=1
	v_or_b32_e32 v1, 0x10000, v0
	v_cmp_eq_u32_sdwa vcc, v0, v11 src0_sel:WORD_0 src1_sel:DWORD
	v_cndmask_b32_e32 v45, v1, v0, vcc
; %bb.111:                              ;   in Loop: Header=BB29_9 Depth=1
	s_or_b64 exec, exec, s[2:3]
	v_lshrrev_b16_e32 v0, 4, v37
	v_and_b32_e32 v0, 15, v0
	v_lshlrev_b32_sdwa v0, v24, v0 dst_sel:DWORD dst_unused:UNUSED_PAD src0_sel:DWORD src1_sel:WORD_0
	ds_read_u16 v0, v0
                                        ; implicit-def: $vgpr46
	s_waitcnt lgkmcnt(0)
	v_lshlrev_b32_e32 v0, 16, v0
	v_mul_f32_e32 v0, v28, v0
	v_and_b32_e32 v1, 0x7f800000, v0
	v_cmp_ne_u32_e32 vcc, s11, v1
	s_and_saveexec_b64 s[2:3], vcc
	s_xor_b64 s[2:3], exec, s[2:3]
; %bb.112:                              ;   in Loop: Header=BB29_9 Depth=1
	v_bfe_u32 v1, v0, 16, 1
	v_add3_u32 v46, v0, v1, s65
                                        ; implicit-def: $vgpr0
; %bb.113:                              ;   in Loop: Header=BB29_9 Depth=1
	s_andn2_saveexec_b64 s[2:3], s[2:3]
; %bb.114:                              ;   in Loop: Header=BB29_9 Depth=1
	v_or_b32_e32 v1, 0x10000, v0
	v_cmp_eq_u32_sdwa vcc, v0, v11 src0_sel:WORD_0 src1_sel:DWORD
	v_cndmask_b32_e32 v46, v1, v0, vcc
; %bb.115:                              ;   in Loop: Header=BB29_9 Depth=1
	s_or_b64 exec, exec, s[2:3]
	v_and_b32_e32 v0, 15, v37
	v_lshlrev_b32_e32 v0, 1, v0
	ds_read_u16 v0, v0
                                        ; implicit-def: $vgpr47
	s_waitcnt lgkmcnt(0)
	v_lshlrev_b32_e32 v0, 16, v0
	v_mul_f32_e32 v0, v28, v0
	v_and_b32_e32 v1, 0x7f800000, v0
	v_cmp_ne_u32_e32 vcc, s11, v1
	s_and_saveexec_b64 s[2:3], vcc
	s_xor_b64 s[2:3], exec, s[2:3]
; %bb.116:                              ;   in Loop: Header=BB29_9 Depth=1
	v_bfe_u32 v1, v0, 16, 1
	v_add3_u32 v47, v0, v1, s65
                                        ; implicit-def: $vgpr0
; %bb.117:                              ;   in Loop: Header=BB29_9 Depth=1
	s_andn2_saveexec_b64 s[2:3], s[2:3]
; %bb.118:                              ;   in Loop: Header=BB29_9 Depth=1
	v_or_b32_e32 v1, 0x10000, v0
	v_cmp_eq_u32_sdwa vcc, v0, v11 src0_sel:WORD_0 src1_sel:DWORD
	v_cndmask_b32_e32 v47, v1, v0, vcc
; %bb.119:                              ;   in Loop: Header=BB29_9 Depth=1
	s_or_b64 exec, exec, s[2:3]
	v_add_u32_e32 v0, -16, v23
	v_cmp_gt_i32_e64 s[2:3], s23, v0
	v_cmp_le_i32_e32 vcc, s23, v0
	s_mov_b64 s[20:21], 0
                                        ; implicit-def: $vgpr4
                                        ; implicit-def: $vgpr38
                                        ; implicit-def: $vgpr49
                                        ; implicit-def: $vgpr48
                                        ; implicit-def: $vgpr0_vgpr1
                                        ; implicit-def: $sgpr66
	s_and_saveexec_b64 s[18:19], vcc
	s_xor_b64 s[18:19], exec, s[18:19]
	s_cbranch_execnz .LBB29_307
; %bb.120:                              ;   in Loop: Header=BB29_9 Depth=1
	s_andn2_saveexec_b64 s[4:5], s[18:19]
	s_cbranch_execnz .LBB29_324
.LBB29_121:                             ;   in Loop: Header=BB29_9 Depth=1
	s_or_b64 exec, exec, s[4:5]
	v_mov_b32_e32 v50, s66
	s_and_saveexec_b64 s[4:5], s[20:21]
	s_cbranch_execz .LBB29_123
.LBB29_122:                             ;   in Loop: Header=BB29_9 Depth=1
	global_load_ushort v50, v[0:1], off
.LBB29_123:                             ;   in Loop: Header=BB29_9 Depth=1
	s_or_b64 exec, exec, s[4:5]
	v_and_b32_e32 v0, 0xffff0000, v40
	s_waitcnt vmcnt(0)
	v_lshlrev_b32_e32 v1, 16, v4
	v_mul_f32_e32 v0, v1, v0
	v_and_b32_e32 v1, 0x7f800000, v0
	v_cmp_ne_u32_e32 vcc, s11, v1
                                        ; implicit-def: $vgpr37
	s_and_saveexec_b64 s[4:5], vcc
	s_xor_b64 s[4:5], exec, s[4:5]
; %bb.124:                              ;   in Loop: Header=BB29_9 Depth=1
	v_bfe_u32 v1, v0, 16, 1
	v_add3_u32 v37, v0, v1, s65
                                        ; implicit-def: $vgpr0
; %bb.125:                              ;   in Loop: Header=BB29_9 Depth=1
	s_andn2_saveexec_b64 s[4:5], s[4:5]
; %bb.126:                              ;   in Loop: Header=BB29_9 Depth=1
	v_or_b32_e32 v1, 0x10000, v0
	v_cmp_eq_u32_sdwa vcc, v0, v11 src0_sel:WORD_0 src1_sel:DWORD
	v_cndmask_b32_e32 v37, v1, v0, vcc
; %bb.127:                              ;   in Loop: Header=BB29_9 Depth=1
	s_or_b64 exec, exec, s[4:5]
	v_and_b32_e32 v0, 0xffff0000, v41
	v_lshlrev_b32_e32 v1, 16, v38
	v_mul_f32_e32 v0, v1, v0
	v_and_b32_e32 v1, 0x7f800000, v0
	v_cmp_ne_u32_e32 vcc, s11, v1
                                        ; implicit-def: $vgpr38
	s_and_saveexec_b64 s[4:5], vcc
	s_xor_b64 s[4:5], exec, s[4:5]
; %bb.128:                              ;   in Loop: Header=BB29_9 Depth=1
	v_bfe_u32 v1, v0, 16, 1
	v_add3_u32 v38, v0, v1, s65
                                        ; implicit-def: $vgpr0
; %bb.129:                              ;   in Loop: Header=BB29_9 Depth=1
	s_andn2_saveexec_b64 s[4:5], s[4:5]
; %bb.130:                              ;   in Loop: Header=BB29_9 Depth=1
	v_or_b32_e32 v1, 0x10000, v0
	v_cmp_eq_u32_sdwa vcc, v0, v11 src0_sel:WORD_0 src1_sel:DWORD
	v_cndmask_b32_e32 v38, v1, v0, vcc
; %bb.131:                              ;   in Loop: Header=BB29_9 Depth=1
	s_or_b64 exec, exec, s[4:5]
	v_and_b32_e32 v0, 0xffff0000, v42
	v_lshlrev_b32_e32 v1, 16, v5
	v_mul_f32_e32 v0, v1, v0
	v_and_b32_e32 v1, 0x7f800000, v0
	v_cmp_ne_u32_e32 vcc, s11, v1
                                        ; implicit-def: $vgpr39
	s_and_saveexec_b64 s[4:5], vcc
	s_xor_b64 s[4:5], exec, s[4:5]
; %bb.132:                              ;   in Loop: Header=BB29_9 Depth=1
	v_bfe_u32 v1, v0, 16, 1
	v_add3_u32 v39, v0, v1, s65
                                        ; implicit-def: $vgpr0
; %bb.133:                              ;   in Loop: Header=BB29_9 Depth=1
	s_andn2_saveexec_b64 s[4:5], s[4:5]
; %bb.134:                              ;   in Loop: Header=BB29_9 Depth=1
	v_or_b32_e32 v1, 0x10000, v0
	v_cmp_eq_u32_sdwa vcc, v0, v11 src0_sel:WORD_0 src1_sel:DWORD
	v_cndmask_b32_e32 v39, v1, v0, vcc
; %bb.135:                              ;   in Loop: Header=BB29_9 Depth=1
	s_or_b64 exec, exec, s[4:5]
	v_and_b32_e32 v0, 0xffff0000, v43
	v_lshlrev_b32_e32 v1, 16, v49
	v_mul_f32_e32 v0, v1, v0
	v_and_b32_e32 v1, 0x7f800000, v0
	v_cmp_ne_u32_e32 vcc, s11, v1
                                        ; implicit-def: $vgpr40
	s_and_saveexec_b64 s[4:5], vcc
	s_xor_b64 s[4:5], exec, s[4:5]
; %bb.136:                              ;   in Loop: Header=BB29_9 Depth=1
	v_bfe_u32 v1, v0, 16, 1
	v_add3_u32 v40, v0, v1, s65
                                        ; implicit-def: $vgpr0
; %bb.137:                              ;   in Loop: Header=BB29_9 Depth=1
	s_andn2_saveexec_b64 s[4:5], s[4:5]
; %bb.138:                              ;   in Loop: Header=BB29_9 Depth=1
	v_or_b32_e32 v1, 0x10000, v0
	v_cmp_eq_u32_sdwa vcc, v0, v11 src0_sel:WORD_0 src1_sel:DWORD
	v_cndmask_b32_e32 v40, v1, v0, vcc
; %bb.139:                              ;   in Loop: Header=BB29_9 Depth=1
	s_or_b64 exec, exec, s[4:5]
	v_and_b32_e32 v0, 0xffff0000, v44
	v_lshlrev_b32_e32 v1, 16, v6
	v_mul_f32_e32 v0, v1, v0
	v_and_b32_e32 v1, 0x7f800000, v0
	v_cmp_ne_u32_e32 vcc, s11, v1
                                        ; implicit-def: $vgpr41
	s_and_saveexec_b64 s[4:5], vcc
	s_xor_b64 s[4:5], exec, s[4:5]
; %bb.140:                              ;   in Loop: Header=BB29_9 Depth=1
	v_bfe_u32 v1, v0, 16, 1
	v_add3_u32 v41, v0, v1, s65
                                        ; implicit-def: $vgpr0
; %bb.141:                              ;   in Loop: Header=BB29_9 Depth=1
	s_andn2_saveexec_b64 s[4:5], s[4:5]
; %bb.142:                              ;   in Loop: Header=BB29_9 Depth=1
	v_or_b32_e32 v1, 0x10000, v0
	v_cmp_eq_u32_sdwa vcc, v0, v11 src0_sel:WORD_0 src1_sel:DWORD
	v_cndmask_b32_e32 v41, v1, v0, vcc
; %bb.143:                              ;   in Loop: Header=BB29_9 Depth=1
	s_or_b64 exec, exec, s[4:5]
	v_and_b32_e32 v0, 0xffff0000, v45
	v_lshlrev_b32_e32 v1, 16, v48
	v_mul_f32_e32 v0, v1, v0
	v_and_b32_e32 v1, 0x7f800000, v0
	v_cmp_ne_u32_e32 vcc, s11, v1
                                        ; implicit-def: $vgpr42
	s_and_saveexec_b64 s[4:5], vcc
	s_xor_b64 s[4:5], exec, s[4:5]
; %bb.144:                              ;   in Loop: Header=BB29_9 Depth=1
	v_bfe_u32 v1, v0, 16, 1
	v_add3_u32 v42, v0, v1, s65
                                        ; implicit-def: $vgpr0
; %bb.145:                              ;   in Loop: Header=BB29_9 Depth=1
	s_andn2_saveexec_b64 s[4:5], s[4:5]
; %bb.146:                              ;   in Loop: Header=BB29_9 Depth=1
	v_or_b32_e32 v1, 0x10000, v0
	v_cmp_eq_u32_sdwa vcc, v0, v11 src0_sel:WORD_0 src1_sel:DWORD
	v_cndmask_b32_e32 v42, v1, v0, vcc
; %bb.147:                              ;   in Loop: Header=BB29_9 Depth=1
	s_or_b64 exec, exec, s[4:5]
	v_and_b32_e32 v0, 0xffff0000, v46
	v_lshlrev_b32_e32 v1, 16, v7
	v_mul_f32_e32 v0, v1, v0
	v_and_b32_e32 v1, 0x7f800000, v0
	v_cmp_ne_u32_e32 vcc, s11, v1
                                        ; implicit-def: $vgpr43
	s_and_saveexec_b64 s[4:5], vcc
	s_xor_b64 s[4:5], exec, s[4:5]
; %bb.148:                              ;   in Loop: Header=BB29_9 Depth=1
	v_bfe_u32 v1, v0, 16, 1
	v_add3_u32 v43, v0, v1, s65
                                        ; implicit-def: $vgpr0
; %bb.149:                              ;   in Loop: Header=BB29_9 Depth=1
	s_andn2_saveexec_b64 s[4:5], s[4:5]
; %bb.150:                              ;   in Loop: Header=BB29_9 Depth=1
	v_or_b32_e32 v1, 0x10000, v0
	v_cmp_eq_u32_sdwa vcc, v0, v11 src0_sel:WORD_0 src1_sel:DWORD
	v_cndmask_b32_e32 v43, v1, v0, vcc
; %bb.151:                              ;   in Loop: Header=BB29_9 Depth=1
	s_or_b64 exec, exec, s[4:5]
	v_and_b32_e32 v0, 0xffff0000, v47
	v_lshlrev_b32_e32 v1, 16, v50
	v_mul_f32_e32 v0, v1, v0
	v_and_b32_e32 v1, 0x7f800000, v0
	v_cmp_ne_u32_e32 vcc, s11, v1
                                        ; implicit-def: $vgpr44
	s_and_saveexec_b64 s[4:5], vcc
	s_xor_b64 s[4:5], exec, s[4:5]
; %bb.152:                              ;   in Loop: Header=BB29_9 Depth=1
	v_bfe_u32 v1, v0, 16, 1
	v_add3_u32 v44, v0, v1, s65
                                        ; implicit-def: $vgpr0
; %bb.153:                              ;   in Loop: Header=BB29_9 Depth=1
	s_andn2_saveexec_b64 s[4:5], s[4:5]
; %bb.154:                              ;   in Loop: Header=BB29_9 Depth=1
	v_or_b32_e32 v1, 0x10000, v0
	v_cmp_eq_u32_sdwa vcc, v0, v11 src0_sel:WORD_0 src1_sel:DWORD
	v_cndmask_b32_e32 v44, v1, v0, vcc
; %bb.155:                              ;   in Loop: Header=BB29_9 Depth=1
	s_or_b64 exec, exec, s[4:5]
	v_lshrrev_b16_e32 v0, 4, v2
	v_and_b32_e32 v0, 15, v0
	v_lshlrev_b32_sdwa v0, v24, v0 dst_sel:DWORD dst_unused:UNUSED_PAD src0_sel:DWORD src1_sel:WORD_0
	ds_read_u16 v0, v0
                                        ; implicit-def: $vgpr45
	s_waitcnt lgkmcnt(0)
	v_lshlrev_b32_e32 v0, 16, v0
	v_mul_f32_e32 v0, v28, v0
	v_and_b32_e32 v1, 0x7f800000, v0
	v_cmp_ne_u32_e32 vcc, s11, v1
	s_and_saveexec_b64 s[4:5], vcc
	s_xor_b64 s[4:5], exec, s[4:5]
; %bb.156:                              ;   in Loop: Header=BB29_9 Depth=1
	v_bfe_u32 v1, v0, 16, 1
	v_add3_u32 v45, v0, v1, s65
                                        ; implicit-def: $vgpr0
; %bb.157:                              ;   in Loop: Header=BB29_9 Depth=1
	s_andn2_saveexec_b64 s[4:5], s[4:5]
; %bb.158:                              ;   in Loop: Header=BB29_9 Depth=1
	v_or_b32_e32 v1, 0x10000, v0
	v_cmp_eq_u32_sdwa vcc, v0, v11 src0_sel:WORD_0 src1_sel:DWORD
	v_cndmask_b32_e32 v45, v1, v0, vcc
; %bb.159:                              ;   in Loop: Header=BB29_9 Depth=1
	s_or_b64 exec, exec, s[4:5]
	v_and_b32_e32 v0, 15, v2
	v_lshlrev_b32_e32 v0, 1, v0
	ds_read_u16 v0, v0
                                        ; implicit-def: $vgpr2
	s_waitcnt lgkmcnt(0)
	v_lshlrev_b32_e32 v0, 16, v0
	v_mul_f32_e32 v0, v28, v0
	v_and_b32_e32 v1, 0x7f800000, v0
	v_cmp_ne_u32_e32 vcc, s11, v1
	s_and_saveexec_b64 s[4:5], vcc
	s_xor_b64 s[4:5], exec, s[4:5]
; %bb.160:                              ;   in Loop: Header=BB29_9 Depth=1
	v_bfe_u32 v1, v0, 16, 1
	v_add3_u32 v2, v0, v1, s65
                                        ; implicit-def: $vgpr0
; %bb.161:                              ;   in Loop: Header=BB29_9 Depth=1
	s_andn2_saveexec_b64 s[4:5], s[4:5]
; %bb.162:                              ;   in Loop: Header=BB29_9 Depth=1
	v_or_b32_e32 v1, 0x10000, v0
	v_cmp_eq_u32_sdwa vcc, v0, v11 src0_sel:WORD_0 src1_sel:DWORD
	v_cndmask_b32_e32 v2, v1, v0, vcc
; %bb.163:                              ;   in Loop: Header=BB29_9 Depth=1
	s_or_b64 exec, exec, s[4:5]
	v_lshrrev_b16_e32 v0, 4, v36
	v_and_b32_e32 v0, 15, v0
	v_lshlrev_b32_sdwa v0, v24, v0 dst_sel:DWORD dst_unused:UNUSED_PAD src0_sel:DWORD src1_sel:WORD_0
	ds_read_u16 v0, v0
                                        ; implicit-def: $vgpr46
	s_waitcnt lgkmcnt(0)
	v_lshlrev_b32_e32 v0, 16, v0
	v_mul_f32_e32 v0, v28, v0
	v_and_b32_e32 v1, 0x7f800000, v0
	v_cmp_ne_u32_e32 vcc, s11, v1
	s_and_saveexec_b64 s[4:5], vcc
	s_xor_b64 s[4:5], exec, s[4:5]
; %bb.164:                              ;   in Loop: Header=BB29_9 Depth=1
	v_bfe_u32 v1, v0, 16, 1
	v_add3_u32 v46, v0, v1, s65
                                        ; implicit-def: $vgpr0
; %bb.165:                              ;   in Loop: Header=BB29_9 Depth=1
	s_andn2_saveexec_b64 s[4:5], s[4:5]
; %bb.166:                              ;   in Loop: Header=BB29_9 Depth=1
	v_or_b32_e32 v1, 0x10000, v0
	v_cmp_eq_u32_sdwa vcc, v0, v11 src0_sel:WORD_0 src1_sel:DWORD
	v_cndmask_b32_e32 v46, v1, v0, vcc
; %bb.167:                              ;   in Loop: Header=BB29_9 Depth=1
	s_or_b64 exec, exec, s[4:5]
	v_and_b32_e32 v0, 15, v36
	v_lshlrev_b32_e32 v0, 1, v0
	ds_read_u16 v0, v0
                                        ; implicit-def: $vgpr47
	s_waitcnt lgkmcnt(0)
	v_lshlrev_b32_e32 v0, 16, v0
	v_mul_f32_e32 v0, v28, v0
	v_and_b32_e32 v1, 0x7f800000, v0
	v_cmp_ne_u32_e32 vcc, s11, v1
	s_and_saveexec_b64 s[4:5], vcc
	s_xor_b64 s[4:5], exec, s[4:5]
; %bb.168:                              ;   in Loop: Header=BB29_9 Depth=1
	v_bfe_u32 v1, v0, 16, 1
	v_add3_u32 v47, v0, v1, s65
                                        ; implicit-def: $vgpr0
; %bb.169:                              ;   in Loop: Header=BB29_9 Depth=1
	s_andn2_saveexec_b64 s[4:5], s[4:5]
; %bb.170:                              ;   in Loop: Header=BB29_9 Depth=1
	v_or_b32_e32 v1, 0x10000, v0
	v_cmp_eq_u32_sdwa vcc, v0, v11 src0_sel:WORD_0 src1_sel:DWORD
	v_cndmask_b32_e32 v47, v1, v0, vcc
; %bb.171:                              ;   in Loop: Header=BB29_9 Depth=1
	s_or_b64 exec, exec, s[4:5]
	v_lshrrev_b16_e32 v0, 4, v35
	v_and_b32_e32 v0, 15, v0
	v_lshlrev_b32_sdwa v0, v24, v0 dst_sel:DWORD dst_unused:UNUSED_PAD src0_sel:DWORD src1_sel:WORD_0
	ds_read_u16 v0, v0
                                        ; implicit-def: $vgpr48
	s_waitcnt lgkmcnt(0)
	v_lshlrev_b32_e32 v0, 16, v0
	v_mul_f32_e32 v0, v28, v0
	v_and_b32_e32 v1, 0x7f800000, v0
	v_cmp_ne_u32_e32 vcc, s11, v1
	s_and_saveexec_b64 s[4:5], vcc
	s_xor_b64 s[4:5], exec, s[4:5]
; %bb.172:                              ;   in Loop: Header=BB29_9 Depth=1
	v_bfe_u32 v1, v0, 16, 1
	v_add3_u32 v48, v0, v1, s65
                                        ; implicit-def: $vgpr0
; %bb.173:                              ;   in Loop: Header=BB29_9 Depth=1
	s_andn2_saveexec_b64 s[4:5], s[4:5]
; %bb.174:                              ;   in Loop: Header=BB29_9 Depth=1
	v_or_b32_e32 v1, 0x10000, v0
	v_cmp_eq_u32_sdwa vcc, v0, v11 src0_sel:WORD_0 src1_sel:DWORD
	v_cndmask_b32_e32 v48, v1, v0, vcc
; %bb.175:                              ;   in Loop: Header=BB29_9 Depth=1
	s_or_b64 exec, exec, s[4:5]
	v_and_b32_e32 v0, 15, v35
	v_lshlrev_b32_e32 v0, 1, v0
	ds_read_u16 v0, v0
                                        ; implicit-def: $vgpr49
	s_waitcnt lgkmcnt(0)
	v_lshlrev_b32_e32 v0, 16, v0
	v_mul_f32_e32 v0, v28, v0
	v_and_b32_e32 v1, 0x7f800000, v0
	v_cmp_ne_u32_e32 vcc, s11, v1
	s_and_saveexec_b64 s[4:5], vcc
	s_xor_b64 s[4:5], exec, s[4:5]
; %bb.176:                              ;   in Loop: Header=BB29_9 Depth=1
	v_bfe_u32 v1, v0, 16, 1
	v_add3_u32 v49, v0, v1, s65
                                        ; implicit-def: $vgpr0
; %bb.177:                              ;   in Loop: Header=BB29_9 Depth=1
	s_andn2_saveexec_b64 s[4:5], s[4:5]
; %bb.178:                              ;   in Loop: Header=BB29_9 Depth=1
	v_or_b32_e32 v1, 0x10000, v0
	v_cmp_eq_u32_sdwa vcc, v0, v11 src0_sel:WORD_0 src1_sel:DWORD
	v_cndmask_b32_e32 v49, v1, v0, vcc
; %bb.179:                              ;   in Loop: Header=BB29_9 Depth=1
	s_or_b64 exec, exec, s[4:5]
	v_lshrrev_b16_e32 v0, 4, v14
	v_and_b32_e32 v0, 15, v0
	v_lshlrev_b32_sdwa v0, v24, v0 dst_sel:DWORD dst_unused:UNUSED_PAD src0_sel:DWORD src1_sel:WORD_0
	ds_read_u16 v0, v0
                                        ; implicit-def: $vgpr50
	s_waitcnt lgkmcnt(0)
	v_lshlrev_b32_e32 v0, 16, v0
	v_mul_f32_e32 v0, v28, v0
	v_and_b32_e32 v1, 0x7f800000, v0
	v_cmp_ne_u32_e32 vcc, s11, v1
	s_and_saveexec_b64 s[4:5], vcc
	s_xor_b64 s[4:5], exec, s[4:5]
; %bb.180:                              ;   in Loop: Header=BB29_9 Depth=1
	v_bfe_u32 v1, v0, 16, 1
	v_add3_u32 v50, v0, v1, s65
                                        ; implicit-def: $vgpr0
; %bb.181:                              ;   in Loop: Header=BB29_9 Depth=1
	s_andn2_saveexec_b64 s[4:5], s[4:5]
; %bb.182:                              ;   in Loop: Header=BB29_9 Depth=1
	v_or_b32_e32 v1, 0x10000, v0
	v_cmp_eq_u32_sdwa vcc, v0, v11 src0_sel:WORD_0 src1_sel:DWORD
	v_cndmask_b32_e32 v50, v1, v0, vcc
; %bb.183:                              ;   in Loop: Header=BB29_9 Depth=1
	s_or_b64 exec, exec, s[4:5]
	v_and_b32_e32 v0, 15, v14
	v_lshlrev_b32_e32 v0, 1, v0
	ds_read_u16 v0, v0
                                        ; implicit-def: $vgpr51
	s_waitcnt lgkmcnt(0)
	v_lshlrev_b32_e32 v0, 16, v0
	v_mul_f32_e32 v0, v28, v0
	v_and_b32_e32 v1, 0x7f800000, v0
	v_cmp_ne_u32_e32 vcc, s11, v1
	s_and_saveexec_b64 s[4:5], vcc
	s_xor_b64 s[4:5], exec, s[4:5]
; %bb.184:                              ;   in Loop: Header=BB29_9 Depth=1
	v_bfe_u32 v1, v0, 16, 1
	v_add3_u32 v51, v0, v1, s65
                                        ; implicit-def: $vgpr0
; %bb.185:                              ;   in Loop: Header=BB29_9 Depth=1
	s_andn2_saveexec_b64 s[4:5], s[4:5]
; %bb.186:                              ;   in Loop: Header=BB29_9 Depth=1
	v_or_b32_e32 v1, 0x10000, v0
	v_cmp_eq_u32_sdwa vcc, v0, v11 src0_sel:WORD_0 src1_sel:DWORD
	v_cndmask_b32_e32 v51, v1, v0, vcc
; %bb.187:                              ;   in Loop: Header=BB29_9 Depth=1
	s_or_b64 exec, exec, s[4:5]
	v_add_u32_e32 v0, -8, v23
	v_cmp_gt_i32_e32 vcc, s23, v0
	v_cmp_le_i32_e64 s[4:5], s23, v0
	s_mov_b64 s[18:19], 0
                                        ; implicit-def: $vgpr4
                                        ; implicit-def: $vgpr35
                                        ; implicit-def: $vgpr53
                                        ; implicit-def: $vgpr52
                                        ; implicit-def: $vgpr0_vgpr1
                                        ; implicit-def: $sgpr20
	s_and_saveexec_b64 s[66:67], s[4:5]
	s_xor_b64 s[4:5], exec, s[66:67]
	s_cbranch_execnz .LBB29_325
; %bb.188:                              ;   in Loop: Header=BB29_9 Depth=1
	s_andn2_saveexec_b64 s[4:5], s[4:5]
	s_cbranch_execnz .LBB29_342
.LBB29_189:                             ;   in Loop: Header=BB29_9 Depth=1
	s_or_b64 exec, exec, s[4:5]
	v_mov_b32_e32 v54, s20
	s_and_saveexec_b64 s[2:3], s[18:19]
	s_cbranch_execz .LBB29_191
.LBB29_190:                             ;   in Loop: Header=BB29_9 Depth=1
	global_load_ushort v54, v[0:1], off
.LBB29_191:                             ;   in Loop: Header=BB29_9 Depth=1
	s_or_b64 exec, exec, s[2:3]
	v_and_b32_e32 v0, 0xffff0000, v45
	s_waitcnt vmcnt(0)
	v_lshlrev_b32_e32 v1, 16, v4
	v_mul_f32_e32 v0, v1, v0
	v_and_b32_e32 v1, 0x7f800000, v0
	v_cmp_ne_u32_e64 s[2:3], s11, v1
                                        ; implicit-def: $vgpr14
	s_and_saveexec_b64 s[4:5], s[2:3]
	s_xor_b64 s[2:3], exec, s[4:5]
; %bb.192:                              ;   in Loop: Header=BB29_9 Depth=1
	v_bfe_u32 v1, v0, 16, 1
	v_add3_u32 v14, v0, v1, s65
                                        ; implicit-def: $vgpr0
; %bb.193:                              ;   in Loop: Header=BB29_9 Depth=1
	s_andn2_saveexec_b64 s[4:5], s[2:3]
; %bb.194:                              ;   in Loop: Header=BB29_9 Depth=1
	v_or_b32_e32 v1, 0x10000, v0
	v_cmp_eq_u32_sdwa s[2:3], v0, v11 src0_sel:WORD_0 src1_sel:DWORD
	v_cndmask_b32_e64 v14, v1, v0, s[2:3]
; %bb.195:                              ;   in Loop: Header=BB29_9 Depth=1
	s_or_b64 exec, exec, s[4:5]
	v_and_b32_e32 v0, 0xffff0000, v2
	v_lshlrev_b32_e32 v1, 16, v35
	v_mul_f32_e32 v0, v1, v0
	v_and_b32_e32 v1, 0x7f800000, v0
	v_cmp_ne_u32_e64 s[2:3], s11, v1
                                        ; implicit-def: $vgpr35
	s_and_saveexec_b64 s[4:5], s[2:3]
	s_xor_b64 s[2:3], exec, s[4:5]
; %bb.196:                              ;   in Loop: Header=BB29_9 Depth=1
	v_bfe_u32 v1, v0, 16, 1
	v_add3_u32 v35, v0, v1, s65
                                        ; implicit-def: $vgpr0
; %bb.197:                              ;   in Loop: Header=BB29_9 Depth=1
	s_andn2_saveexec_b64 s[4:5], s[2:3]
; %bb.198:                              ;   in Loop: Header=BB29_9 Depth=1
	v_or_b32_e32 v1, 0x10000, v0
	v_cmp_eq_u32_sdwa s[2:3], v0, v11 src0_sel:WORD_0 src1_sel:DWORD
	v_cndmask_b32_e64 v35, v1, v0, s[2:3]
; %bb.199:                              ;   in Loop: Header=BB29_9 Depth=1
	s_or_b64 exec, exec, s[4:5]
	v_and_b32_e32 v0, 0xffff0000, v46
	v_lshlrev_b32_e32 v1, 16, v5
	v_mul_f32_e32 v0, v1, v0
	v_and_b32_e32 v1, 0x7f800000, v0
	v_cmp_ne_u32_e64 s[2:3], s11, v1
                                        ; implicit-def: $vgpr36
	s_and_saveexec_b64 s[4:5], s[2:3]
	s_xor_b64 s[2:3], exec, s[4:5]
; %bb.200:                              ;   in Loop: Header=BB29_9 Depth=1
	v_bfe_u32 v1, v0, 16, 1
	v_add3_u32 v36, v0, v1, s65
                                        ; implicit-def: $vgpr0
; %bb.201:                              ;   in Loop: Header=BB29_9 Depth=1
	s_andn2_saveexec_b64 s[4:5], s[2:3]
; %bb.202:                              ;   in Loop: Header=BB29_9 Depth=1
	v_or_b32_e32 v1, 0x10000, v0
	v_cmp_eq_u32_sdwa s[2:3], v0, v11 src0_sel:WORD_0 src1_sel:DWORD
	v_cndmask_b32_e64 v36, v1, v0, s[2:3]
; %bb.203:                              ;   in Loop: Header=BB29_9 Depth=1
	s_or_b64 exec, exec, s[4:5]
	v_and_b32_e32 v0, 0xffff0000, v47
	v_lshlrev_b32_e32 v1, 16, v53
	v_mul_f32_e32 v0, v1, v0
	v_and_b32_e32 v1, 0x7f800000, v0
	v_cmp_ne_u32_e64 s[2:3], s11, v1
                                        ; implicit-def: $vgpr45
	s_and_saveexec_b64 s[4:5], s[2:3]
	s_xor_b64 s[2:3], exec, s[4:5]
; %bb.204:                              ;   in Loop: Header=BB29_9 Depth=1
	v_bfe_u32 v1, v0, 16, 1
	v_add3_u32 v45, v0, v1, s65
                                        ; implicit-def: $vgpr0
; %bb.205:                              ;   in Loop: Header=BB29_9 Depth=1
	s_andn2_saveexec_b64 s[4:5], s[2:3]
; %bb.206:                              ;   in Loop: Header=BB29_9 Depth=1
	v_or_b32_e32 v1, 0x10000, v0
	v_cmp_eq_u32_sdwa s[2:3], v0, v11 src0_sel:WORD_0 src1_sel:DWORD
	v_cndmask_b32_e64 v45, v1, v0, s[2:3]
; %bb.207:                              ;   in Loop: Header=BB29_9 Depth=1
	s_or_b64 exec, exec, s[4:5]
	v_and_b32_e32 v0, 0xffff0000, v48
	v_lshlrev_b32_e32 v1, 16, v6
	v_mul_f32_e32 v0, v1, v0
	v_and_b32_e32 v1, 0x7f800000, v0
	v_cmp_ne_u32_e64 s[2:3], s11, v1
                                        ; implicit-def: $vgpr6
	s_and_saveexec_b64 s[4:5], s[2:3]
	s_xor_b64 s[2:3], exec, s[4:5]
; %bb.208:                              ;   in Loop: Header=BB29_9 Depth=1
	v_bfe_u32 v1, v0, 16, 1
	v_add3_u32 v6, v0, v1, s65
                                        ; implicit-def: $vgpr0
; %bb.209:                              ;   in Loop: Header=BB29_9 Depth=1
	s_andn2_saveexec_b64 s[4:5], s[2:3]
; %bb.210:                              ;   in Loop: Header=BB29_9 Depth=1
	v_or_b32_e32 v1, 0x10000, v0
	v_cmp_eq_u32_sdwa s[2:3], v0, v11 src0_sel:WORD_0 src1_sel:DWORD
	v_cndmask_b32_e64 v6, v1, v0, s[2:3]
; %bb.211:                              ;   in Loop: Header=BB29_9 Depth=1
	s_or_b64 exec, exec, s[4:5]
	v_and_b32_e32 v0, 0xffff0000, v49
	v_lshlrev_b32_e32 v1, 16, v52
	v_mul_f32_e32 v0, v1, v0
	v_and_b32_e32 v1, 0x7f800000, v0
	v_cmp_ne_u32_e64 s[2:3], s11, v1
                                        ; implicit-def: $vgpr46
	s_and_saveexec_b64 s[4:5], s[2:3]
	s_xor_b64 s[2:3], exec, s[4:5]
; %bb.212:                              ;   in Loop: Header=BB29_9 Depth=1
	v_bfe_u32 v1, v0, 16, 1
	v_add3_u32 v46, v0, v1, s65
                                        ; implicit-def: $vgpr0
; %bb.213:                              ;   in Loop: Header=BB29_9 Depth=1
	s_andn2_saveexec_b64 s[4:5], s[2:3]
; %bb.214:                              ;   in Loop: Header=BB29_9 Depth=1
	v_or_b32_e32 v1, 0x10000, v0
	v_cmp_eq_u32_sdwa s[2:3], v0, v11 src0_sel:WORD_0 src1_sel:DWORD
	v_cndmask_b32_e64 v46, v1, v0, s[2:3]
; %bb.215:                              ;   in Loop: Header=BB29_9 Depth=1
	s_or_b64 exec, exec, s[4:5]
	v_and_b32_e32 v0, 0xffff0000, v50
	v_lshlrev_b32_e32 v1, 16, v7
	v_mul_f32_e32 v0, v1, v0
	v_and_b32_e32 v1, 0x7f800000, v0
	v_cmp_ne_u32_e64 s[2:3], s11, v1
                                        ; implicit-def: $vgpr7
	s_and_saveexec_b64 s[4:5], s[2:3]
	s_xor_b64 s[2:3], exec, s[4:5]
; %bb.216:                              ;   in Loop: Header=BB29_9 Depth=1
	v_bfe_u32 v1, v0, 16, 1
	v_add3_u32 v7, v0, v1, s65
                                        ; implicit-def: $vgpr0
; %bb.217:                              ;   in Loop: Header=BB29_9 Depth=1
	s_andn2_saveexec_b64 s[4:5], s[2:3]
; %bb.218:                              ;   in Loop: Header=BB29_9 Depth=1
	v_or_b32_e32 v1, 0x10000, v0
	v_cmp_eq_u32_sdwa s[2:3], v0, v11 src0_sel:WORD_0 src1_sel:DWORD
	v_cndmask_b32_e64 v7, v1, v0, s[2:3]
; %bb.219:                              ;   in Loop: Header=BB29_9 Depth=1
	s_or_b64 exec, exec, s[4:5]
	v_and_b32_e32 v0, 0xffff0000, v51
	v_lshlrev_b32_e32 v1, 16, v54
	v_mul_f32_e32 v0, v1, v0
	v_and_b32_e32 v1, 0x7f800000, v0
	v_cmp_ne_u32_e64 s[2:3], s11, v1
                                        ; implicit-def: $vgpr47
	s_and_saveexec_b64 s[4:5], s[2:3]
	s_xor_b64 s[2:3], exec, s[4:5]
; %bb.220:                              ;   in Loop: Header=BB29_9 Depth=1
	v_bfe_u32 v1, v0, 16, 1
	v_add3_u32 v47, v0, v1, s65
                                        ; implicit-def: $vgpr0
; %bb.221:                              ;   in Loop: Header=BB29_9 Depth=1
	s_andn2_saveexec_b64 s[4:5], s[2:3]
; %bb.222:                              ;   in Loop: Header=BB29_9 Depth=1
	v_or_b32_e32 v1, 0x10000, v0
	v_cmp_eq_u32_sdwa s[2:3], v0, v11 src0_sel:WORD_0 src1_sel:DWORD
	v_cndmask_b32_e64 v47, v1, v0, s[2:3]
; %bb.223:                              ;   in Loop: Header=BB29_9 Depth=1
	s_or_b64 exec, exec, s[4:5]
	v_lshrrev_b16_e32 v0, 4, v3
	v_and_b32_e32 v0, 15, v0
	v_lshlrev_b32_sdwa v0, v24, v0 dst_sel:DWORD dst_unused:UNUSED_PAD src0_sel:DWORD src1_sel:WORD_0
	ds_read_u16 v0, v0
                                        ; implicit-def: $vgpr48
	s_waitcnt lgkmcnt(0)
	v_lshlrev_b32_e32 v0, 16, v0
	v_mul_f32_e32 v0, v28, v0
	v_and_b32_e32 v1, 0x7f800000, v0
	v_cmp_ne_u32_e64 s[2:3], s11, v1
	s_and_saveexec_b64 s[4:5], s[2:3]
	s_xor_b64 s[2:3], exec, s[4:5]
; %bb.224:                              ;   in Loop: Header=BB29_9 Depth=1
	v_bfe_u32 v1, v0, 16, 1
	v_add3_u32 v48, v0, v1, s65
                                        ; implicit-def: $vgpr0
; %bb.225:                              ;   in Loop: Header=BB29_9 Depth=1
	s_andn2_saveexec_b64 s[4:5], s[2:3]
; %bb.226:                              ;   in Loop: Header=BB29_9 Depth=1
	v_or_b32_e32 v1, 0x10000, v0
	v_cmp_eq_u32_sdwa s[2:3], v0, v11 src0_sel:WORD_0 src1_sel:DWORD
	v_cndmask_b32_e64 v48, v1, v0, s[2:3]
; %bb.227:                              ;   in Loop: Header=BB29_9 Depth=1
	s_or_b64 exec, exec, s[4:5]
	v_and_b32_e32 v0, 15, v3
	v_lshlrev_b32_e32 v0, 1, v0
	ds_read_u16 v0, v0
                                        ; implicit-def: $vgpr49
	s_waitcnt lgkmcnt(0)
	v_lshlrev_b32_e32 v0, 16, v0
	v_mul_f32_e32 v0, v28, v0
	v_and_b32_e32 v1, 0x7f800000, v0
	v_cmp_ne_u32_e64 s[2:3], s11, v1
	s_and_saveexec_b64 s[4:5], s[2:3]
	s_xor_b64 s[2:3], exec, s[4:5]
; %bb.228:                              ;   in Loop: Header=BB29_9 Depth=1
	v_bfe_u32 v1, v0, 16, 1
	v_add3_u32 v49, v0, v1, s65
                                        ; implicit-def: $vgpr0
; %bb.229:                              ;   in Loop: Header=BB29_9 Depth=1
	s_andn2_saveexec_b64 s[4:5], s[2:3]
; %bb.230:                              ;   in Loop: Header=BB29_9 Depth=1
	v_or_b32_e32 v1, 0x10000, v0
	v_cmp_eq_u32_sdwa s[2:3], v0, v11 src0_sel:WORD_0 src1_sel:DWORD
	v_cndmask_b32_e64 v49, v1, v0, s[2:3]
; %bb.231:                              ;   in Loop: Header=BB29_9 Depth=1
	s_or_b64 exec, exec, s[4:5]
	v_lshrrev_b16_e32 v0, 4, v26
	v_and_b32_e32 v0, 15, v0
	v_lshlrev_b32_sdwa v0, v24, v0 dst_sel:DWORD dst_unused:UNUSED_PAD src0_sel:DWORD src1_sel:WORD_0
	ds_read_u16 v0, v0
                                        ; implicit-def: $vgpr50
	s_waitcnt lgkmcnt(0)
	v_lshlrev_b32_e32 v0, 16, v0
	v_mul_f32_e32 v0, v28, v0
	v_and_b32_e32 v1, 0x7f800000, v0
	v_cmp_ne_u32_e64 s[2:3], s11, v1
	s_and_saveexec_b64 s[4:5], s[2:3]
	s_xor_b64 s[2:3], exec, s[4:5]
; %bb.232:                              ;   in Loop: Header=BB29_9 Depth=1
	v_bfe_u32 v1, v0, 16, 1
	v_add3_u32 v50, v0, v1, s65
                                        ; implicit-def: $vgpr0
; %bb.233:                              ;   in Loop: Header=BB29_9 Depth=1
	s_andn2_saveexec_b64 s[4:5], s[2:3]
; %bb.234:                              ;   in Loop: Header=BB29_9 Depth=1
	v_or_b32_e32 v1, 0x10000, v0
	v_cmp_eq_u32_sdwa s[2:3], v0, v11 src0_sel:WORD_0 src1_sel:DWORD
	v_cndmask_b32_e64 v50, v1, v0, s[2:3]
; %bb.235:                              ;   in Loop: Header=BB29_9 Depth=1
	s_or_b64 exec, exec, s[4:5]
	v_and_b32_e32 v0, 15, v26
	v_lshlrev_b32_e32 v0, 1, v0
	ds_read_u16 v0, v0
                                        ; implicit-def: $vgpr26
	s_waitcnt lgkmcnt(0)
	v_lshlrev_b32_e32 v0, 16, v0
	v_mul_f32_e32 v0, v28, v0
	v_and_b32_e32 v1, 0x7f800000, v0
	v_cmp_ne_u32_e64 s[2:3], s11, v1
	s_and_saveexec_b64 s[4:5], s[2:3]
	s_xor_b64 s[2:3], exec, s[4:5]
; %bb.236:                              ;   in Loop: Header=BB29_9 Depth=1
	v_bfe_u32 v1, v0, 16, 1
	v_add3_u32 v26, v0, v1, s65
                                        ; implicit-def: $vgpr0
; %bb.237:                              ;   in Loop: Header=BB29_9 Depth=1
	s_andn2_saveexec_b64 s[4:5], s[2:3]
; %bb.238:                              ;   in Loop: Header=BB29_9 Depth=1
	v_or_b32_e32 v1, 0x10000, v0
	v_cmp_eq_u32_sdwa s[2:3], v0, v11 src0_sel:WORD_0 src1_sel:DWORD
	v_cndmask_b32_e64 v26, v1, v0, s[2:3]
; %bb.239:                              ;   in Loop: Header=BB29_9 Depth=1
	s_or_b64 exec, exec, s[4:5]
	v_lshrrev_b16_e32 v0, 4, v15
	v_and_b32_e32 v0, 15, v0
	v_lshlrev_b32_sdwa v0, v24, v0 dst_sel:DWORD dst_unused:UNUSED_PAD src0_sel:DWORD src1_sel:WORD_0
	ds_read_u16 v0, v0
                                        ; implicit-def: $vgpr51
	s_waitcnt lgkmcnt(0)
	v_lshlrev_b32_e32 v0, 16, v0
	v_mul_f32_e32 v0, v28, v0
	v_and_b32_e32 v1, 0x7f800000, v0
	v_cmp_ne_u32_e64 s[2:3], s11, v1
	s_and_saveexec_b64 s[4:5], s[2:3]
	s_xor_b64 s[2:3], exec, s[4:5]
; %bb.240:                              ;   in Loop: Header=BB29_9 Depth=1
	v_bfe_u32 v1, v0, 16, 1
	v_add3_u32 v51, v0, v1, s65
                                        ; implicit-def: $vgpr0
; %bb.241:                              ;   in Loop: Header=BB29_9 Depth=1
	s_andn2_saveexec_b64 s[4:5], s[2:3]
; %bb.242:                              ;   in Loop: Header=BB29_9 Depth=1
	v_or_b32_e32 v1, 0x10000, v0
	v_cmp_eq_u32_sdwa s[2:3], v0, v11 src0_sel:WORD_0 src1_sel:DWORD
	v_cndmask_b32_e64 v51, v1, v0, s[2:3]
; %bb.243:                              ;   in Loop: Header=BB29_9 Depth=1
	s_or_b64 exec, exec, s[4:5]
	v_and_b32_e32 v0, 15, v15
	v_lshlrev_b32_e32 v0, 1, v0
	ds_read_u16 v0, v0
                                        ; implicit-def: $vgpr15
	s_waitcnt lgkmcnt(0)
	v_lshlrev_b32_e32 v0, 16, v0
	v_mul_f32_e32 v0, v28, v0
	v_and_b32_e32 v1, 0x7f800000, v0
	v_cmp_ne_u32_e64 s[2:3], s11, v1
	s_and_saveexec_b64 s[4:5], s[2:3]
	s_xor_b64 s[2:3], exec, s[4:5]
; %bb.244:                              ;   in Loop: Header=BB29_9 Depth=1
	v_bfe_u32 v1, v0, 16, 1
	v_add3_u32 v15, v0, v1, s65
                                        ; implicit-def: $vgpr0
; %bb.245:                              ;   in Loop: Header=BB29_9 Depth=1
	s_andn2_saveexec_b64 s[4:5], s[2:3]
; %bb.246:                              ;   in Loop: Header=BB29_9 Depth=1
	v_or_b32_e32 v1, 0x10000, v0
	v_cmp_eq_u32_sdwa s[2:3], v0, v11 src0_sel:WORD_0 src1_sel:DWORD
	v_cndmask_b32_e64 v15, v1, v0, s[2:3]
; %bb.247:                              ;   in Loop: Header=BB29_9 Depth=1
	s_or_b64 exec, exec, s[4:5]
	v_lshrrev_b16_e32 v0, 4, v27
	v_and_b32_e32 v0, 15, v0
	v_lshlrev_b32_sdwa v0, v24, v0 dst_sel:DWORD dst_unused:UNUSED_PAD src0_sel:DWORD src1_sel:WORD_0
	ds_read_u16 v0, v0
                                        ; implicit-def: $vgpr52
	s_waitcnt lgkmcnt(0)
	v_lshlrev_b32_e32 v0, 16, v0
	v_mul_f32_e32 v0, v28, v0
	v_and_b32_e32 v1, 0x7f800000, v0
	v_cmp_ne_u32_e64 s[2:3], s11, v1
	s_and_saveexec_b64 s[4:5], s[2:3]
	s_xor_b64 s[2:3], exec, s[4:5]
; %bb.248:                              ;   in Loop: Header=BB29_9 Depth=1
	v_bfe_u32 v1, v0, 16, 1
	v_add3_u32 v52, v0, v1, s65
                                        ; implicit-def: $vgpr0
; %bb.249:                              ;   in Loop: Header=BB29_9 Depth=1
	s_andn2_saveexec_b64 s[4:5], s[2:3]
; %bb.250:                              ;   in Loop: Header=BB29_9 Depth=1
	v_or_b32_e32 v1, 0x10000, v0
	v_cmp_eq_u32_sdwa s[2:3], v0, v11 src0_sel:WORD_0 src1_sel:DWORD
	v_cndmask_b32_e64 v52, v1, v0, s[2:3]
; %bb.251:                              ;   in Loop: Header=BB29_9 Depth=1
	s_or_b64 exec, exec, s[4:5]
	v_and_b32_e32 v0, 15, v27
	v_lshlrev_b32_e32 v0, 1, v0
	ds_read_u16 v0, v0
                                        ; implicit-def: $vgpr27
	s_waitcnt lgkmcnt(0)
	v_lshlrev_b32_e32 v0, 16, v0
	v_mul_f32_e32 v0, v28, v0
	v_and_b32_e32 v1, 0x7f800000, v0
	v_cmp_ne_u32_e64 s[2:3], s11, v1
	s_and_saveexec_b64 s[4:5], s[2:3]
	s_xor_b64 s[2:3], exec, s[4:5]
; %bb.252:                              ;   in Loop: Header=BB29_9 Depth=1
	v_bfe_u32 v1, v0, 16, 1
	v_add3_u32 v27, v0, v1, s65
                                        ; implicit-def: $vgpr0
; %bb.253:                              ;   in Loop: Header=BB29_9 Depth=1
	s_andn2_saveexec_b64 s[4:5], s[2:3]
; %bb.254:                              ;   in Loop: Header=BB29_9 Depth=1
	v_or_b32_e32 v1, 0x10000, v0
	v_cmp_eq_u32_sdwa s[2:3], v0, v11 src0_sel:WORD_0 src1_sel:DWORD
	v_cndmask_b32_e64 v27, v1, v0, s[2:3]
; %bb.255:                              ;   in Loop: Header=BB29_9 Depth=1
	s_or_b64 exec, exec, s[4:5]
	v_cmp_le_i32_e64 s[2:3], s23, v23
	s_mov_b64 s[4:5], 0
                                        ; implicit-def: $vgpr0
                                        ; implicit-def: $vgpr54
                                        ; implicit-def: $vgpr53
                                        ; implicit-def: $vgpr28
                                        ; implicit-def: $sgpr18
	s_and_saveexec_b64 s[20:21], s[2:3]
	s_xor_b64 s[2:3], exec, s[20:21]
	s_cbranch_execnz .LBB29_343
; %bb.256:                              ;   in Loop: Header=BB29_9 Depth=1
	s_or_saveexec_b64 s[2:3], s[2:3]
	v_pk_mov_b32 v[4:5], v[12:13], v[12:13] op_sel:[0,1]
	s_xor_b64 exec, exec, s[2:3]
	s_cbranch_execnz .LBB29_358
.LBB29_257:                             ;   in Loop: Header=BB29_9 Depth=1
	s_or_b64 exec, exec, s[2:3]
	v_mov_b32_e32 v10, s18
	s_and_saveexec_b64 s[2:3], s[4:5]
	s_cbranch_execz .LBB29_259
.LBB29_258:                             ;   in Loop: Header=BB29_9 Depth=1
	global_load_ushort v10, v[4:5], off
.LBB29_259:                             ;   in Loop: Header=BB29_9 Depth=1
	s_or_b64 exec, exec, s[2:3]
	v_and_b32_e32 v4, 0xffff0000, v48
	s_waitcnt vmcnt(0)
	v_lshlrev_b32_e32 v0, 16, v0
	v_mul_f32_e32 v4, v0, v4
	v_and_b32_e32 v0, 0x7f800000, v4
	v_cmp_ne_u32_e32 vcc, s11, v0
                                        ; implicit-def: $vgpr0
	s_and_saveexec_b64 s[2:3], vcc
	s_xor_b64 s[2:3], exec, s[2:3]
; %bb.260:                              ;   in Loop: Header=BB29_9 Depth=1
	v_bfe_u32 v0, v4, 16, 1
	v_add3_u32 v0, v4, v0, s65
                                        ; implicit-def: $vgpr4
; %bb.261:                              ;   in Loop: Header=BB29_9 Depth=1
	s_andn2_saveexec_b64 s[2:3], s[2:3]
; %bb.262:                              ;   in Loop: Header=BB29_9 Depth=1
	v_or_b32_e32 v0, 0x10000, v4
	v_cmp_eq_u32_sdwa vcc, v4, v11 src0_sel:WORD_0 src1_sel:DWORD
	v_cndmask_b32_e32 v0, v0, v4, vcc
; %bb.263:                              ;   in Loop: Header=BB29_9 Depth=1
	s_or_b64 exec, exec, s[2:3]
	v_and_b32_e32 v4, 0xffff0000, v49
	v_lshlrev_b32_e32 v5, 16, v54
	v_mul_f32_e32 v5, v5, v4
	v_and_b32_e32 v4, 0x7f800000, v5
	v_cmp_ne_u32_e32 vcc, s11, v4
                                        ; implicit-def: $vgpr4
	s_and_saveexec_b64 s[2:3], vcc
	s_xor_b64 s[2:3], exec, s[2:3]
; %bb.264:                              ;   in Loop: Header=BB29_9 Depth=1
	v_bfe_u32 v4, v5, 16, 1
	v_add3_u32 v4, v5, v4, s65
                                        ; implicit-def: $vgpr5
; %bb.265:                              ;   in Loop: Header=BB29_9 Depth=1
	s_andn2_saveexec_b64 s[2:3], s[2:3]
; %bb.266:                              ;   in Loop: Header=BB29_9 Depth=1
	v_or_b32_e32 v4, 0x10000, v5
	v_cmp_eq_u32_sdwa vcc, v5, v11 src0_sel:WORD_0 src1_sel:DWORD
	v_cndmask_b32_e32 v4, v4, v5, vcc
; %bb.267:                              ;   in Loop: Header=BB29_9 Depth=1
	s_or_b64 exec, exec, s[2:3]
	v_and_b32_e32 v5, 0xffff0000, v50
	v_lshlrev_b32_e32 v1, 16, v1
	v_mul_f32_e32 v5, v1, v5
	v_and_b32_e32 v1, 0x7f800000, v5
	v_cmp_ne_u32_e32 vcc, s11, v1
                                        ; implicit-def: $vgpr1
	s_and_saveexec_b64 s[2:3], vcc
	s_xor_b64 s[2:3], exec, s[2:3]
; %bb.268:                              ;   in Loop: Header=BB29_9 Depth=1
	v_bfe_u32 v1, v5, 16, 1
	v_add3_u32 v1, v5, v1, s65
                                        ; implicit-def: $vgpr5
; %bb.269:                              ;   in Loop: Header=BB29_9 Depth=1
	s_andn2_saveexec_b64 s[2:3], s[2:3]
; %bb.270:                              ;   in Loop: Header=BB29_9 Depth=1
	v_or_b32_e32 v1, 0x10000, v5
	v_cmp_eq_u32_sdwa vcc, v5, v11 src0_sel:WORD_0 src1_sel:DWORD
	v_cndmask_b32_e32 v1, v1, v5, vcc
; %bb.271:                              ;   in Loop: Header=BB29_9 Depth=1
	s_or_b64 exec, exec, s[2:3]
	v_and_b32_e32 v5, 0xffff0000, v26
	v_lshlrev_b32_e32 v26, 16, v53
	v_mul_f32_e32 v26, v26, v5
	v_and_b32_e32 v5, 0x7f800000, v26
	v_cmp_ne_u32_e32 vcc, s11, v5
                                        ; implicit-def: $vgpr5
	s_and_saveexec_b64 s[2:3], vcc
	s_xor_b64 s[2:3], exec, s[2:3]
; %bb.272:                              ;   in Loop: Header=BB29_9 Depth=1
	v_bfe_u32 v5, v26, 16, 1
	v_add3_u32 v5, v26, v5, s65
                                        ; implicit-def: $vgpr26
; %bb.273:                              ;   in Loop: Header=BB29_9 Depth=1
	s_andn2_saveexec_b64 s[2:3], s[2:3]
; %bb.274:                              ;   in Loop: Header=BB29_9 Depth=1
	v_or_b32_e32 v5, 0x10000, v26
	v_cmp_eq_u32_sdwa vcc, v26, v11 src0_sel:WORD_0 src1_sel:DWORD
	v_cndmask_b32_e32 v5, v5, v26, vcc
; %bb.275:                              ;   in Loop: Header=BB29_9 Depth=1
	s_or_b64 exec, exec, s[2:3]
	v_and_b32_e32 v26, 0xffff0000, v51
	v_lshlrev_b32_e32 v2, 16, v2
	v_mul_f32_e32 v26, v2, v26
	v_and_b32_e32 v2, 0x7f800000, v26
	v_cmp_ne_u32_e32 vcc, s11, v2
                                        ; implicit-def: $vgpr2
	s_and_saveexec_b64 s[2:3], vcc
	s_xor_b64 s[2:3], exec, s[2:3]
; %bb.276:                              ;   in Loop: Header=BB29_9 Depth=1
	v_bfe_u32 v2, v26, 16, 1
	v_add3_u32 v2, v26, v2, s65
                                        ; implicit-def: $vgpr26
; %bb.277:                              ;   in Loop: Header=BB29_9 Depth=1
	s_andn2_saveexec_b64 s[2:3], s[2:3]
; %bb.278:                              ;   in Loop: Header=BB29_9 Depth=1
	v_or_b32_e32 v2, 0x10000, v26
	v_cmp_eq_u32_sdwa vcc, v26, v11 src0_sel:WORD_0 src1_sel:DWORD
	v_cndmask_b32_e32 v2, v2, v26, vcc
; %bb.279:                              ;   in Loop: Header=BB29_9 Depth=1
	s_or_b64 exec, exec, s[2:3]
	v_and_b32_e32 v15, 0xffff0000, v15
	v_lshlrev_b32_e32 v26, 16, v28
	v_mul_f32_e32 v26, v26, v15
	v_and_b32_e32 v15, 0x7f800000, v26
	v_cmp_ne_u32_e32 vcc, s11, v15
                                        ; implicit-def: $vgpr15
	s_and_saveexec_b64 s[2:3], vcc
	s_xor_b64 s[2:3], exec, s[2:3]
; %bb.280:                              ;   in Loop: Header=BB29_9 Depth=1
	v_bfe_u32 v15, v26, 16, 1
	v_add3_u32 v15, v26, v15, s65
                                        ; implicit-def: $vgpr26
; %bb.281:                              ;   in Loop: Header=BB29_9 Depth=1
	s_andn2_saveexec_b64 s[2:3], s[2:3]
; %bb.282:                              ;   in Loop: Header=BB29_9 Depth=1
	v_or_b32_e32 v15, 0x10000, v26
	v_cmp_eq_u32_sdwa vcc, v26, v11 src0_sel:WORD_0 src1_sel:DWORD
	v_cndmask_b32_e32 v15, v15, v26, vcc
; %bb.283:                              ;   in Loop: Header=BB29_9 Depth=1
	s_or_b64 exec, exec, s[2:3]
	v_and_b32_e32 v26, 0xffff0000, v52
	v_lshlrev_b32_e32 v3, 16, v3
	v_mul_f32_e32 v26, v3, v26
	v_and_b32_e32 v3, 0x7f800000, v26
	v_cmp_ne_u32_e32 vcc, s11, v3
                                        ; implicit-def: $vgpr3
	s_and_saveexec_b64 s[2:3], vcc
	s_xor_b64 s[2:3], exec, s[2:3]
; %bb.284:                              ;   in Loop: Header=BB29_9 Depth=1
	v_bfe_u32 v3, v26, 16, 1
	v_add3_u32 v3, v26, v3, s65
                                        ; implicit-def: $vgpr26
; %bb.285:                              ;   in Loop: Header=BB29_9 Depth=1
	s_andn2_saveexec_b64 s[2:3], s[2:3]
; %bb.286:                              ;   in Loop: Header=BB29_9 Depth=1
	v_or_b32_e32 v3, 0x10000, v26
	v_cmp_eq_u32_sdwa vcc, v26, v11 src0_sel:WORD_0 src1_sel:DWORD
	v_cndmask_b32_e32 v3, v3, v26, vcc
; %bb.287:                              ;   in Loop: Header=BB29_9 Depth=1
	s_or_b64 exec, exec, s[2:3]
	v_and_b32_e32 v26, 0xffff0000, v27
	v_lshlrev_b32_e32 v10, 16, v10
	v_mul_f32_e32 v26, v10, v26
	v_and_b32_e32 v10, 0x7f800000, v26
	v_cmp_ne_u32_e32 vcc, s11, v10
                                        ; implicit-def: $vgpr10
	s_and_saveexec_b64 s[2:3], vcc
	s_xor_b64 s[2:3], exec, s[2:3]
; %bb.288:                              ;   in Loop: Header=BB29_9 Depth=1
	v_bfe_u32 v10, v26, 16, 1
	v_add3_u32 v10, v26, v10, s65
                                        ; implicit-def: $vgpr26
; %bb.289:                              ;   in Loop: Header=BB29_9 Depth=1
	s_andn2_saveexec_b64 s[2:3], s[2:3]
	s_cbranch_execz .LBB29_8
; %bb.290:                              ;   in Loop: Header=BB29_9 Depth=1
	v_or_b32_e32 v10, 0x10000, v26
	v_cmp_eq_u32_sdwa vcc, v26, v11 src0_sel:WORD_0 src1_sel:DWORD
	v_cndmask_b32_e32 v10, v10, v26, vcc
	s_branch .LBB29_8
.LBB29_291:                             ;   in Loop: Header=BB29_9 Depth=1
	global_load_ushort v4, v[12:13], off offset:-62
	v_subrev_u32_e32 v5, 31, v23
	v_cmp_gt_i32_e32 vcc, s23, v5
	v_mov_b32_e32 v5, 0
	v_mov_b32_e32 v43, 0
	s_and_saveexec_b64 s[18:19], vcc
	s_cbranch_execz .LBB29_293
; %bb.292:                              ;   in Loop: Header=BB29_9 Depth=1
	global_load_ushort v43, v[12:13], off offset:-60
.LBB29_293:                             ;   in Loop: Header=BB29_9 Depth=1
	s_or_b64 exec, exec, s[18:19]
	v_subrev_u32_e32 v6, 30, v23
	v_cmp_gt_i32_e32 vcc, s23, v6
	s_and_saveexec_b64 s[18:19], vcc
	s_cbranch_execz .LBB29_295
; %bb.294:                              ;   in Loop: Header=BB29_9 Depth=1
	global_load_ushort v5, v[12:13], off offset:-58
.LBB29_295:                             ;   in Loop: Header=BB29_9 Depth=1
	s_or_b64 exec, exec, s[18:19]
	v_subrev_u32_e32 v6, 29, v23
	v_cmp_gt_i32_e32 vcc, s23, v6
	v_mov_b32_e32 v6, 0
	v_mov_b32_e32 v42, 0
	s_and_saveexec_b64 s[18:19], vcc
	s_cbranch_execz .LBB29_297
; %bb.296:                              ;   in Loop: Header=BB29_9 Depth=1
	global_load_ushort v42, v[12:13], off offset:-56
.LBB29_297:                             ;   in Loop: Header=BB29_9 Depth=1
	s_or_b64 exec, exec, s[18:19]
	v_subrev_u32_e32 v7, 28, v23
	v_cmp_gt_i32_e32 vcc, s23, v7
	s_and_saveexec_b64 s[18:19], vcc
	s_cbranch_execz .LBB29_299
; %bb.298:                              ;   in Loop: Header=BB29_9 Depth=1
	global_load_ushort v6, v[12:13], off offset:-54
.LBB29_299:                             ;   in Loop: Header=BB29_9 Depth=1
	s_or_b64 exec, exec, s[18:19]
	;; [unrolled: 18-line block ×3, first 2 shown]
	v_subrev_u32_e32 v10, 25, v23
	v_cmp_gt_i32_e32 vcc, s23, v10
	s_mov_b64 s[18:19], 0
                                        ; implicit-def: $vgpr16_vgpr17
	s_and_saveexec_b64 s[20:21], vcc
	s_xor_b64 s[20:21], exec, s[20:21]
; %bb.304:                              ;   in Loop: Header=BB29_9 Depth=1
	v_add_co_u32_e32 v16, vcc, 0xffffffd0, v12
	s_mov_b64 s[18:19], exec
	v_addc_co_u32_e32 v17, vcc, -1, v13, vcc
; %bb.305:                              ;   in Loop: Header=BB29_9 Depth=1
	s_or_b64 exec, exec, s[20:21]
	s_mov_b32 s20, 0
	s_and_b64 s[18:19], s[18:19], exec
	s_or_saveexec_b64 s[2:3], s[2:3]
	v_lshrrev_b32_e32 v10, 3, v18
	s_xor_b64 exec, exec, s[2:3]
	s_cbranch_execz .LBB29_53
.LBB29_306:                             ;   in Loop: Header=BB29_9 Depth=1
	global_load_dwordx4 v[4:7], v[12:13], off offset:-62
	v_lshlrev_b64 v[16:17], 4, v[10:11]
	s_waitcnt vmcnt(1)
	v_mov_b32_e32 v41, s17
	v_add_co_u32_e32 v16, vcc, s16, v16
	v_addc_co_u32_e32 v17, vcc, v41, v17, vcc
	v_add_co_u32_e32 v16, vcc, 14, v16
	v_addc_co_u32_e32 v17, vcc, 0, v17, vcc
	s_or_b64 s[18:19], s[18:19], exec
	s_waitcnt vmcnt(0)
	v_lshrrev_b32_e32 v43, 16, v4
	v_lshrrev_b32_e32 v42, 16, v5
	;; [unrolled: 1-line block ×3, first 2 shown]
	s_or_b64 exec, exec, s[2:3]
	v_mov_b32_e32 v44, s20
	s_and_saveexec_b64 s[2:3], s[18:19]
	s_cbranch_execnz .LBB29_54
	s_branch .LBB29_55
.LBB29_307:                             ;   in Loop: Header=BB29_9 Depth=1
	v_mov_b32_e32 v38, 0
	v_mov_b32_e32 v4, 0
	s_and_saveexec_b64 s[20:21], s[4:5]
	s_cbranch_execz .LBB29_309
; %bb.308:                              ;   in Loop: Header=BB29_9 Depth=1
	global_load_ushort v4, v[12:13], off offset:-46
.LBB29_309:                             ;   in Loop: Header=BB29_9 Depth=1
	s_or_b64 exec, exec, s[20:21]
	v_subrev_u32_e32 v0, 23, v23
	v_cmp_gt_i32_e32 vcc, s23, v0
	s_and_saveexec_b64 s[4:5], vcc
	s_cbranch_execz .LBB29_311
; %bb.310:                              ;   in Loop: Header=BB29_9 Depth=1
	global_load_ushort v38, v[12:13], off offset:-44
.LBB29_311:                             ;   in Loop: Header=BB29_9 Depth=1
	s_or_b64 exec, exec, s[4:5]
	v_subrev_u32_e32 v0, 22, v23
	v_cmp_gt_i32_e32 vcc, s23, v0
	v_mov_b32_e32 v49, 0
	v_mov_b32_e32 v5, 0
	s_and_saveexec_b64 s[4:5], vcc
	s_cbranch_execz .LBB29_313
; %bb.312:                              ;   in Loop: Header=BB29_9 Depth=1
	global_load_ushort v5, v[12:13], off offset:-42
.LBB29_313:                             ;   in Loop: Header=BB29_9 Depth=1
	s_or_b64 exec, exec, s[4:5]
	v_subrev_u32_e32 v0, 21, v23
	v_cmp_gt_i32_e32 vcc, s23, v0
	s_and_saveexec_b64 s[4:5], vcc
	s_cbranch_execz .LBB29_315
; %bb.314:                              ;   in Loop: Header=BB29_9 Depth=1
	global_load_ushort v49, v[12:13], off offset:-40
.LBB29_315:                             ;   in Loop: Header=BB29_9 Depth=1
	s_or_b64 exec, exec, s[4:5]
	v_subrev_u32_e32 v0, 20, v23
	v_cmp_gt_i32_e32 vcc, s23, v0
	v_mov_b32_e32 v48, 0
	v_mov_b32_e32 v6, 0
	s_and_saveexec_b64 s[4:5], vcc
	s_cbranch_execz .LBB29_317
; %bb.316:                              ;   in Loop: Header=BB29_9 Depth=1
	global_load_ushort v6, v[12:13], off offset:-38
.LBB29_317:                             ;   in Loop: Header=BB29_9 Depth=1
	s_or_b64 exec, exec, s[4:5]
	v_subrev_u32_e32 v0, 19, v23
	v_cmp_gt_i32_e32 vcc, s23, v0
	s_and_saveexec_b64 s[4:5], vcc
	s_cbranch_execz .LBB29_319
; %bb.318:                              ;   in Loop: Header=BB29_9 Depth=1
	global_load_ushort v48, v[12:13], off offset:-36
.LBB29_319:                             ;   in Loop: Header=BB29_9 Depth=1
	s_or_b64 exec, exec, s[4:5]
	v_subrev_u32_e32 v0, 18, v23
	v_cmp_gt_i32_e32 vcc, s23, v0
	v_mov_b32_e32 v7, 0
	s_and_saveexec_b64 s[4:5], vcc
	s_cbranch_execz .LBB29_321
; %bb.320:                              ;   in Loop: Header=BB29_9 Depth=1
	global_load_ushort v7, v[12:13], off offset:-34
.LBB29_321:                             ;   in Loop: Header=BB29_9 Depth=1
	s_or_b64 exec, exec, s[4:5]
	v_subrev_u32_e32 v0, 17, v23
	v_cmp_gt_i32_e32 vcc, s23, v0
	s_mov_b64 s[4:5], 0
                                        ; implicit-def: $vgpr0_vgpr1
	s_and_saveexec_b64 s[20:21], vcc
; %bb.322:                              ;   in Loop: Header=BB29_9 Depth=1
	v_add_co_u32_e32 v0, vcc, 0xffffffe0, v12
	s_mov_b64 s[4:5], exec
	v_addc_co_u32_e32 v1, vcc, -1, v13, vcc
; %bb.323:                              ;   in Loop: Header=BB29_9 Depth=1
	s_or_b64 exec, exec, s[20:21]
	s_mov_b32 s66, 0
	s_and_b64 s[20:21], s[4:5], exec
	s_andn2_saveexec_b64 s[4:5], s[18:19]
	s_cbranch_execz .LBB29_121
.LBB29_324:                             ;   in Loop: Header=BB29_9 Depth=1
	global_load_dwordx4 v[4:7], v[12:13], off offset:-46
	v_lshlrev_b64 v[0:1], 4, v[10:11]
	v_mov_b32_e32 v37, s59
	v_add_co_u32_e32 v0, vcc, s58, v0
	v_addc_co_u32_e32 v1, vcc, v37, v1, vcc
	v_add_co_u32_e32 v0, vcc, 14, v0
	v_addc_co_u32_e32 v1, vcc, 0, v1, vcc
	s_or_b64 s[20:21], s[20:21], exec
	s_waitcnt vmcnt(0)
	v_lshrrev_b32_e32 v38, 16, v4
	v_lshrrev_b32_e32 v49, 16, v5
	;; [unrolled: 1-line block ×3, first 2 shown]
	s_or_b64 exec, exec, s[4:5]
	v_mov_b32_e32 v50, s66
	s_and_saveexec_b64 s[4:5], s[20:21]
	s_cbranch_execnz .LBB29_122
	s_branch .LBB29_123
.LBB29_325:                             ;   in Loop: Header=BB29_9 Depth=1
	v_mov_b32_e32 v35, 0
	v_mov_b32_e32 v4, 0
	s_and_saveexec_b64 s[18:19], s[2:3]
	s_cbranch_execz .LBB29_327
; %bb.326:                              ;   in Loop: Header=BB29_9 Depth=1
	global_load_ushort v4, v[12:13], off offset:-30
.LBB29_327:                             ;   in Loop: Header=BB29_9 Depth=1
	s_or_b64 exec, exec, s[18:19]
	v_add_u32_e32 v0, -15, v23
	v_cmp_gt_i32_e64 s[2:3], s23, v0
	s_and_saveexec_b64 s[18:19], s[2:3]
	s_cbranch_execz .LBB29_329
; %bb.328:                              ;   in Loop: Header=BB29_9 Depth=1
	global_load_ushort v35, v[12:13], off offset:-28
.LBB29_329:                             ;   in Loop: Header=BB29_9 Depth=1
	s_or_b64 exec, exec, s[18:19]
	v_add_u32_e32 v0, -14, v23
	v_cmp_gt_i32_e64 s[2:3], s23, v0
	v_mov_b32_e32 v53, 0
	v_mov_b32_e32 v5, 0
	s_and_saveexec_b64 s[18:19], s[2:3]
	s_cbranch_execz .LBB29_331
; %bb.330:                              ;   in Loop: Header=BB29_9 Depth=1
	global_load_ushort v5, v[12:13], off offset:-26
.LBB29_331:                             ;   in Loop: Header=BB29_9 Depth=1
	s_or_b64 exec, exec, s[18:19]
	v_add_u32_e32 v0, -13, v23
	v_cmp_gt_i32_e64 s[2:3], s23, v0
	s_and_saveexec_b64 s[18:19], s[2:3]
	s_cbranch_execz .LBB29_333
; %bb.332:                              ;   in Loop: Header=BB29_9 Depth=1
	global_load_ushort v53, v[12:13], off offset:-24
.LBB29_333:                             ;   in Loop: Header=BB29_9 Depth=1
	s_or_b64 exec, exec, s[18:19]
	v_add_u32_e32 v0, -12, v23
	v_cmp_gt_i32_e64 s[2:3], s23, v0
	;; [unrolled: 18-line block ×3, first 2 shown]
	v_mov_b32_e32 v7, 0
	s_and_saveexec_b64 s[18:19], s[2:3]
	s_cbranch_execz .LBB29_339
; %bb.338:                              ;   in Loop: Header=BB29_9 Depth=1
	global_load_ushort v7, v[12:13], off offset:-18
.LBB29_339:                             ;   in Loop: Header=BB29_9 Depth=1
	s_or_b64 exec, exec, s[18:19]
	v_add_u32_e32 v0, -9, v23
	v_cmp_gt_i32_e64 s[2:3], s23, v0
	s_mov_b64 s[18:19], 0
                                        ; implicit-def: $vgpr0_vgpr1
	s_and_saveexec_b64 s[20:21], s[2:3]
; %bb.340:                              ;   in Loop: Header=BB29_9 Depth=1
	v_add_co_u32_e64 v0, s[2:3], -16, v12
	s_mov_b64 s[18:19], exec
	v_addc_co_u32_e64 v1, s[2:3], -1, v13, s[2:3]
; %bb.341:                              ;   in Loop: Header=BB29_9 Depth=1
	s_or_b64 exec, exec, s[20:21]
	s_mov_b32 s20, 0
	s_and_b64 s[18:19], s[18:19], exec
	s_andn2_saveexec_b64 s[4:5], s[4:5]
	s_cbranch_execz .LBB29_189
.LBB29_342:                             ;   in Loop: Header=BB29_9 Depth=1
	global_load_dwordx4 v[4:7], v[12:13], off offset:-30
	v_lshlrev_b64 v[0:1], 4, v[10:11]
	v_mov_b32_e32 v14, s61
	v_add_co_u32_e64 v0, s[2:3], s60, v0
	v_addc_co_u32_e64 v1, s[2:3], v14, v1, s[2:3]
	v_add_co_u32_e64 v0, s[2:3], 14, v0
	v_addc_co_u32_e64 v1, s[2:3], 0, v1, s[2:3]
	s_or_b64 s[18:19], s[18:19], exec
	s_waitcnt vmcnt(0)
	v_lshrrev_b32_e32 v35, 16, v4
	v_lshrrev_b32_e32 v53, 16, v5
	;; [unrolled: 1-line block ×3, first 2 shown]
	s_or_b64 exec, exec, s[4:5]
	v_mov_b32_e32 v54, s20
	s_and_saveexec_b64 s[2:3], s[18:19]
	s_cbranch_execnz .LBB29_190
	s_branch .LBB29_191
.LBB29_343:                             ;   in Loop: Header=BB29_9 Depth=1
	v_mov_b32_e32 v54, 0
	v_mov_b32_e32 v0, 0
	s_and_saveexec_b64 s[4:5], vcc
	s_cbranch_execz .LBB29_345
; %bb.344:                              ;   in Loop: Header=BB29_9 Depth=1
	global_load_ushort v0, v[12:13], off offset:-14
.LBB29_345:                             ;   in Loop: Header=BB29_9 Depth=1
	s_or_b64 exec, exec, s[4:5]
	v_add_u32_e32 v1, -7, v23
	v_cmp_gt_i32_e32 vcc, s23, v1
	s_and_saveexec_b64 s[4:5], vcc
	s_cbranch_execz .LBB29_347
; %bb.346:                              ;   in Loop: Header=BB29_9 Depth=1
	global_load_ushort v54, v[12:13], off offset:-12
.LBB29_347:                             ;   in Loop: Header=BB29_9 Depth=1
	s_or_b64 exec, exec, s[4:5]
	v_add_u32_e32 v1, -6, v23
	v_cmp_gt_i32_e32 vcc, s23, v1
	v_mov_b32_e32 v53, 0
	v_mov_b32_e32 v1, 0
	s_and_saveexec_b64 s[4:5], vcc
	s_cbranch_execz .LBB29_349
; %bb.348:                              ;   in Loop: Header=BB29_9 Depth=1
	global_load_ushort v1, v[12:13], off offset:-10
.LBB29_349:                             ;   in Loop: Header=BB29_9 Depth=1
	s_or_b64 exec, exec, s[4:5]
	v_add_u32_e32 v2, -5, v23
	v_cmp_gt_i32_e32 vcc, s23, v2
	s_and_saveexec_b64 s[4:5], vcc
	s_cbranch_execz .LBB29_351
; %bb.350:                              ;   in Loop: Header=BB29_9 Depth=1
	global_load_ushort v53, v[12:13], off offset:-8
.LBB29_351:                             ;   in Loop: Header=BB29_9 Depth=1
	s_or_b64 exec, exec, s[4:5]
	v_add_u32_e32 v2, -4, v23
	v_cmp_gt_i32_e32 vcc, s23, v2
	v_mov_b32_e32 v28, 0
	v_mov_b32_e32 v2, 0
	s_and_saveexec_b64 s[4:5], vcc
	s_cbranch_execz .LBB29_353
; %bb.352:                              ;   in Loop: Header=BB29_9 Depth=1
	global_load_ushort v2, v[12:13], off offset:-6
.LBB29_353:                             ;   in Loop: Header=BB29_9 Depth=1
	s_or_b64 exec, exec, s[4:5]
	v_add_u32_e32 v3, -3, v23
	v_cmp_gt_i32_e32 vcc, s23, v3
	s_and_saveexec_b64 s[4:5], vcc
	s_cbranch_execz .LBB29_355
; %bb.354:                              ;   in Loop: Header=BB29_9 Depth=1
	global_load_ushort v28, v[12:13], off offset:-4
.LBB29_355:                             ;   in Loop: Header=BB29_9 Depth=1
	s_or_b64 exec, exec, s[4:5]
	v_add_u32_e32 v3, -2, v23
	v_cmp_gt_i32_e32 vcc, s23, v3
	v_mov_b32_e32 v3, 0
	s_and_saveexec_b64 s[4:5], vcc
	s_cbranch_execz .LBB29_357
; %bb.356:                              ;   in Loop: Header=BB29_9 Depth=1
	global_load_ushort v3, v[12:13], off offset:-2
.LBB29_357:                             ;   in Loop: Header=BB29_9 Depth=1
	s_or_b64 exec, exec, s[4:5]
	v_add_u32_e32 v4, -1, v23
	v_cmp_gt_i32_e32 vcc, s23, v4
	s_mov_b32 s18, 0
	s_and_b64 s[4:5], vcc, exec
	s_or_saveexec_b64 s[2:3], s[2:3]
	v_pk_mov_b32 v[4:5], v[12:13], v[12:13] op_sel:[0,1]
	s_xor_b64 exec, exec, s[2:3]
	s_cbranch_execz .LBB29_257
.LBB29_358:                             ;   in Loop: Header=BB29_9 Depth=1
	global_load_dwordx4 v[0:3], v[12:13], off offset:-14
	v_lshlrev_b64 v[4:5], 4, v[10:11]
	v_mov_b32_e32 v10, s63
	v_add_co_u32_e32 v4, vcc, s62, v4
	v_addc_co_u32_e32 v5, vcc, v10, v5, vcc
	v_add_co_u32_e32 v4, vcc, 14, v4
	v_addc_co_u32_e32 v5, vcc, 0, v5, vcc
	s_or_b64 s[4:5], s[4:5], exec
	s_waitcnt vmcnt(0)
	v_lshrrev_b32_e32 v54, 16, v0
	v_lshrrev_b32_e32 v53, 16, v1
	;; [unrolled: 1-line block ×3, first 2 shown]
	s_or_b64 exec, exec, s[2:3]
	v_mov_b32_e32 v10, s18
	s_and_saveexec_b64 s[2:3], s[4:5]
	s_cbranch_execnz .LBB29_258
	s_branch .LBB29_259
.LBB29_359:                             ;   in Loop: Header=BB29_9 Depth=1
	v_cmp_gt_u32_e32 vcc, s25, v21
	v_mov_b32_e32 v16, 0x77
	v_mov_b32_e32 v0, 0x77
	s_and_saveexec_b64 s[18:19], vcc
	s_cbranch_execz .LBB29_361
; %bb.360:                              ;   in Loop: Header=BB29_9 Depth=1
	v_mov_b32_e32 v1, s9
	v_add_co_u32_e32 v0, vcc, s8, v5
	v_addc_co_u32_e32 v1, vcc, v1, v27, vcc
	global_load_ubyte v0, v[0:1], off
.LBB29_361:                             ;   in Loop: Header=BB29_9 Depth=1
	s_or_b64 exec, exec, s[18:19]
	v_add_u32_e32 v1, 1, v21
	v_cmp_gt_u32_e32 vcc, s25, v1
	s_and_saveexec_b64 s[18:19], vcc
	s_cbranch_execz .LBB29_363
; %bb.362:                              ;   in Loop: Header=BB29_9 Depth=1
	v_mov_b32_e32 v1, s28
	v_add_co_u32_e32 v2, vcc, s27, v5
	v_addc_co_u32_e32 v3, vcc, v1, v27, vcc
	global_load_ubyte v16, v[2:3], off
.LBB29_363:                             ;   in Loop: Header=BB29_9 Depth=1
	s_or_b64 exec, exec, s[18:19]
	v_add_u32_e32 v1, 2, v21
	v_cmp_gt_u32_e32 vcc, s25, v1
	v_mov_b32_e32 v4, 0x77
	v_mov_b32_e32 v10, 0x77
	s_and_saveexec_b64 s[18:19], vcc
	s_cbranch_execz .LBB29_365
; %bb.364:                              ;   in Loop: Header=BB29_9 Depth=1
	v_mov_b32_e32 v1, s30
	v_add_co_u32_e32 v2, vcc, s29, v5
	v_addc_co_u32_e32 v3, vcc, v1, v27, vcc
	global_load_ubyte v10, v[2:3], off
.LBB29_365:                             ;   in Loop: Header=BB29_9 Depth=1
	s_or_b64 exec, exec, s[18:19]
	v_add_u32_e32 v1, 3, v21
	v_cmp_gt_u32_e32 vcc, s25, v1
	s_and_saveexec_b64 s[18:19], vcc
	s_cbranch_execz .LBB29_367
; %bb.366:                              ;   in Loop: Header=BB29_9 Depth=1
	v_mov_b32_e32 v1, s33
	v_add_co_u32_e32 v2, vcc, s31, v5
	v_addc_co_u32_e32 v3, vcc, v1, v27, vcc
	global_load_ubyte v4, v[2:3], off
.LBB29_367:                             ;   in Loop: Header=BB29_9 Depth=1
	s_or_b64 exec, exec, s[18:19]
	v_add_u32_e32 v1, 4, v21
	v_cmp_gt_u32_e32 vcc, s25, v1
	v_mov_b32_e32 v39, 0x77
	v_mov_b32_e32 v1, 0x77
	s_and_saveexec_b64 s[18:19], vcc
	s_cbranch_execz .LBB29_369
; %bb.368:                              ;   in Loop: Header=BB29_9 Depth=1
	v_mov_b32_e32 v1, s35
	v_add_co_u32_e32 v2, vcc, s34, v5
	v_addc_co_u32_e32 v3, vcc, v1, v27, vcc
	global_load_ubyte v1, v[2:3], off
.LBB29_369:                             ;   in Loop: Header=BB29_9 Depth=1
	s_or_b64 exec, exec, s[18:19]
	v_add_u32_e32 v2, 5, v21
	v_cmp_gt_u32_e32 vcc, s25, v2
	s_and_saveexec_b64 s[18:19], vcc
	s_cbranch_execz .LBB29_371
; %bb.370:                              ;   in Loop: Header=BB29_9 Depth=1
	v_mov_b32_e32 v3, s37
	v_add_co_u32_e32 v2, vcc, s36, v5
	v_addc_co_u32_e32 v3, vcc, v3, v27, vcc
	global_load_ubyte v39, v[2:3], off
.LBB29_371:                             ;   in Loop: Header=BB29_9 Depth=1
	s_or_b64 exec, exec, s[18:19]
	v_add_u32_e32 v2, 6, v21
	v_cmp_gt_u32_e32 vcc, s25, v2
	v_mov_b32_e32 v37, 0x77
	v_mov_b32_e32 v38, 0x77
	s_and_saveexec_b64 s[18:19], vcc
	s_cbranch_execz .LBB29_373
; %bb.372:                              ;   in Loop: Header=BB29_9 Depth=1
	v_mov_b32_e32 v3, s39
	v_add_co_u32_e32 v2, vcc, s38, v5
	v_addc_co_u32_e32 v3, vcc, v3, v27, vcc
	global_load_ubyte v38, v[2:3], off
.LBB29_373:                             ;   in Loop: Header=BB29_9 Depth=1
	s_or_b64 exec, exec, s[18:19]
	v_add_u32_e32 v2, 7, v21
	v_cmp_gt_u32_e32 vcc, s25, v2
	s_and_saveexec_b64 s[18:19], vcc
	s_cbranch_execz .LBB29_375
; %bb.374:                              ;   in Loop: Header=BB29_9 Depth=1
	v_mov_b32_e32 v3, s41
	v_add_co_u32_e32 v2, vcc, s40, v5
	v_addc_co_u32_e32 v3, vcc, v3, v27, vcc
	global_load_ubyte v37, v[2:3], off
.LBB29_375:                             ;   in Loop: Header=BB29_9 Depth=1
	s_or_b64 exec, exec, s[18:19]
	v_add_u32_e32 v2, 8, v21
	v_cmp_gt_u32_e32 vcc, s25, v2
	v_mov_b32_e32 v36, 0x77
	v_mov_b32_e32 v2, 0x77
	s_and_saveexec_b64 s[18:19], vcc
	s_cbranch_execz .LBB29_377
; %bb.376:                              ;   in Loop: Header=BB29_9 Depth=1
	v_mov_b32_e32 v3, s43
	v_add_co_u32_e32 v2, vcc, s42, v5
	v_addc_co_u32_e32 v3, vcc, v3, v27, vcc
	global_load_ubyte v2, v[2:3], off
.LBB29_377:                             ;   in Loop: Header=BB29_9 Depth=1
	s_or_b64 exec, exec, s[18:19]
	v_add_u32_e32 v3, 9, v21
	v_cmp_gt_u32_e32 vcc, s25, v3
	s_and_saveexec_b64 s[18:19], vcc
	s_cbranch_execz .LBB29_379
; %bb.378:                              ;   in Loop: Header=BB29_9 Depth=1
	v_mov_b32_e32 v3, s45
	v_add_co_u32_e32 v6, vcc, s44, v5
	v_addc_co_u32_e32 v7, vcc, v3, v27, vcc
	global_load_ubyte v36, v[6:7], off
.LBB29_379:                             ;   in Loop: Header=BB29_9 Depth=1
	s_or_b64 exec, exec, s[18:19]
	v_add_u32_e32 v3, 10, v21
	v_cmp_gt_u32_e32 vcc, s25, v3
	v_mov_b32_e32 v14, 0x77
	v_mov_b32_e32 v35, 0x77
	s_and_saveexec_b64 s[18:19], vcc
	s_cbranch_execz .LBB29_381
; %bb.380:                              ;   in Loop: Header=BB29_9 Depth=1
	v_mov_b32_e32 v3, s47
	v_add_co_u32_e32 v6, vcc, s46, v5
	v_addc_co_u32_e32 v7, vcc, v3, v27, vcc
	global_load_ubyte v35, v[6:7], off
.LBB29_381:                             ;   in Loop: Header=BB29_9 Depth=1
	s_or_b64 exec, exec, s[18:19]
	v_add_u32_e32 v3, 11, v21
	v_cmp_gt_u32_e32 vcc, s25, v3
	s_and_saveexec_b64 s[18:19], vcc
	s_cbranch_execz .LBB29_383
; %bb.382:                              ;   in Loop: Header=BB29_9 Depth=1
	v_mov_b32_e32 v3, s49
	v_add_co_u32_e32 v6, vcc, s48, v5
	v_addc_co_u32_e32 v7, vcc, v3, v27, vcc
	global_load_ubyte v14, v[6:7], off
.LBB29_383:                             ;   in Loop: Header=BB29_9 Depth=1
	s_or_b64 exec, exec, s[18:19]
	v_add_u32_e32 v3, 12, v21
	v_cmp_gt_u32_e32 vcc, s25, v3
	v_mov_b32_e32 v26, 0x77
	v_mov_b32_e32 v3, 0x77
	s_and_saveexec_b64 s[18:19], vcc
	s_cbranch_execz .LBB29_385
; %bb.384:                              ;   in Loop: Header=BB29_9 Depth=1
	v_mov_b32_e32 v3, s51
	v_add_co_u32_e32 v6, vcc, s50, v5
	v_addc_co_u32_e32 v7, vcc, v3, v27, vcc
	global_load_ubyte v3, v[6:7], off
.LBB29_385:                             ;   in Loop: Header=BB29_9 Depth=1
	s_or_b64 exec, exec, s[18:19]
	v_add_u32_e32 v6, 13, v21
	v_cmp_gt_u32_e32 vcc, s25, v6
	s_and_saveexec_b64 s[18:19], vcc
	s_cbranch_execz .LBB29_387
; %bb.386:                              ;   in Loop: Header=BB29_9 Depth=1
	v_mov_b32_e32 v7, s53
	v_add_co_u32_e32 v6, vcc, s52, v5
	v_addc_co_u32_e32 v7, vcc, v7, v27, vcc
	global_load_ubyte v26, v[6:7], off
.LBB29_387:                             ;   in Loop: Header=BB29_9 Depth=1
	s_or_b64 exec, exec, s[18:19]
	v_add_u32_e32 v6, 14, v21
	v_cmp_gt_u32_e32 vcc, s25, v6
	v_mov_b32_e32 v15, 0x77
	s_and_saveexec_b64 s[18:19], vcc
	s_cbranch_execz .LBB29_389
; %bb.388:                              ;   in Loop: Header=BB29_9 Depth=1
	v_mov_b32_e32 v7, s55
	v_add_co_u32_e32 v6, vcc, s54, v5
	v_addc_co_u32_e32 v7, vcc, v7, v27, vcc
	global_load_ubyte v15, v[6:7], off
.LBB29_389:                             ;   in Loop: Header=BB29_9 Depth=1
	s_or_b64 exec, exec, s[18:19]
	v_add_u32_e32 v6, 15, v21
	v_cmp_gt_u32_e32 vcc, s25, v6
	s_mov_b64 s[18:19], 0
                                        ; implicit-def: $vgpr6_vgpr7
	s_and_saveexec_b64 s[20:21], vcc
	s_xor_b64 s[20:21], exec, s[20:21]
; %bb.390:                              ;   in Loop: Header=BB29_9 Depth=1
	v_mov_b32_e32 v7, s57
	v_add_co_u32_e32 v6, vcc, s56, v5
	s_mov_b64 s[18:19], exec
	v_addc_co_u32_e32 v7, vcc, v7, v27, vcc
; %bb.391:                              ;   in Loop: Header=BB29_9 Depth=1
	s_or_b64 exec, exec, s[20:21]
	s_movk_i32 s20, 0x77
	s_and_b64 s[18:19], s[18:19], exec
                                        ; implicit-def: $vgpr27
                                        ; implicit-def: $vgpr5
	s_andn2_saveexec_b64 s[4:5], s[4:5]
	s_cbranch_execz .LBB29_16
.LBB29_392:                             ;   in Loop: Header=BB29_9 Depth=1
	s_waitcnt vmcnt(0)
	v_lshrrev_b32_e32 v0, 28, v27
	v_add_u32_e32 v0, v5, v0
	v_ashrrev_i32_e32 v0, 4, v0
	v_ashrrev_i32_e32 v1, 31, v0
	v_lshlrev_b64 v[0:1], 4, v[0:1]
	v_mov_b32_e32 v2, s9
	v_add_co_u32_e32 v4, vcc, s8, v0
	v_addc_co_u32_e32 v5, vcc, v2, v1, vcc
	global_load_dwordx4 v[0:3], v[4:5], off
	v_add_co_u32_e32 v6, vcc, 15, v4
	v_addc_co_u32_e32 v7, vcc, 0, v5, vcc
	s_or_b64 s[18:19], s[18:19], exec
	s_waitcnt vmcnt(0)
	v_lshrrev_b64 v[14:15], 24, v[2:3]
	v_lshrrev_b32_e32 v16, 8, v0
	v_lshrrev_b32_e32 v10, 16, v0
	v_lshrrev_b64 v[4:5], 24, v[0:1]
	v_lshrrev_b32_e32 v39, 8, v1
	v_lshrrev_b32_e32 v38, 16, v1
	;; [unrolled: 1-line block ×7, first 2 shown]
	s_or_b64 exec, exec, s[4:5]
	v_mov_b32_e32 v27, s20
	s_and_saveexec_b64 s[4:5], s[18:19]
	s_cbranch_execnz .LBB29_17
	s_branch .LBB29_18
.LBB29_393:
	s_or_b64 exec, exec, s[12:13]
.LBB29_394:
	s_or_b64 exec, exec, s[6:7]
	v_mov_b32_dpp v0, v25 quad_perm:[1,0,3,2] row_mask:0xf bank_mask:0xf
	v_add_f32_e32 v0, v25, v0
	v_bfrev_b32_e32 v2, 0.5
	v_cmp_gt_i32_e32 vcc, s22, v8
	v_mov_b32_dpp v1, v0 quad_perm:[2,3,0,1] row_mask:0xf bank_mask:0xf
	v_add_f32_e32 v0, v0, v1
	v_cmp_eq_u32_e64 s[0:1], 0, v9
	s_and_b64 s[0:1], s[0:1], vcc
	v_mov_b32_dpp v1, v0 row_ror:4 row_mask:0xf bank_mask:0xf
	v_add_f32_e32 v0, v0, v1
	s_nop 1
	v_mov_b32_dpp v1, v0 row_ror:8 row_mask:0xf bank_mask:0xf
	v_add_f32_e32 v0, v0, v1
	s_nop 1
	v_mov_b32_dpp v1, v0 row_bcast:15 row_mask:0xf bank_mask:0xf
	v_add_f32_e32 v0, v0, v1
	s_nop 1
	v_mov_b32_dpp v1, v0 row_bcast:31 row_mask:0xf bank_mask:0xf
	v_add_f32_e32 v0, v0, v1
	v_mbcnt_lo_u32_b32 v1, -1, 0
	v_mbcnt_hi_u32_b32 v1, -1, v1
	v_lshl_or_b32 v1, v1, 2, v2
	ds_bpermute_b32 v0, v1, v0
	s_and_saveexec_b64 s[2:3], s[0:1]
	s_cbranch_execz .LBB29_400
; %bb.395:
	s_mov_b32 s0, 0x7f800000
	s_waitcnt lgkmcnt(0)
	v_and_b32_e32 v1, 0x7f800000, v0
	v_cmp_ne_u32_e32 vcc, s0, v1
                                        ; implicit-def: $vgpr1
	s_and_saveexec_b64 s[0:1], vcc
	s_xor_b64 s[0:1], exec, s[0:1]
; %bb.396:
	v_bfe_u32 v1, v0, 16, 1
	s_movk_i32 s2, 0x7fff
	v_add3_u32 v1, v0, v1, s2
                                        ; implicit-def: $vgpr0
; %bb.397:
	s_andn2_saveexec_b64 s[0:1], s[0:1]
; %bb.398:
	v_mov_b32_e32 v1, 0
	v_or_b32_e32 v2, 0x10000, v0
	v_cmp_eq_u32_sdwa vcc, v0, v1 src0_sel:WORD_0 src1_sel:DWORD
	v_cndmask_b32_e32 v1, v2, v0, vcc
; %bb.399:
	s_or_b64 exec, exec, s[0:1]
	v_ashrrev_i32_e32 v9, 31, v8
	v_lshlrev_b64 v[2:3], 1, v[8:9]
	v_mov_b32_e32 v0, s15
	v_add_co_u32_e32 v2, vcc, s14, v2
	v_addc_co_u32_e32 v3, vcc, v0, v3, vcc
	global_store_short_d16_hi v[2:3], v1, off
.LBB29_400:
	s_endpgm
	.section	.rodata,"a",@progbits
	.p2align	6, 0x0
	.amdhsa_kernel _Z26kgemm_4bit_inference_naiveI12hip_bfloat16Li128ELi16EEviiiPT_PhPfPKfS2_iiii
		.amdhsa_group_segment_fixed_size 32
		.amdhsa_private_segment_fixed_size 0
		.amdhsa_kernarg_size 72
		.amdhsa_user_sgpr_count 6
		.amdhsa_user_sgpr_private_segment_buffer 1
		.amdhsa_user_sgpr_dispatch_ptr 0
		.amdhsa_user_sgpr_queue_ptr 0
		.amdhsa_user_sgpr_kernarg_segment_ptr 1
		.amdhsa_user_sgpr_dispatch_id 0
		.amdhsa_user_sgpr_flat_scratch_init 0
		.amdhsa_user_sgpr_kernarg_preload_length 0
		.amdhsa_user_sgpr_kernarg_preload_offset 0
		.amdhsa_user_sgpr_private_segment_size 0
		.amdhsa_uses_dynamic_stack 0
		.amdhsa_system_sgpr_private_segment_wavefront_offset 0
		.amdhsa_system_sgpr_workgroup_id_x 1
		.amdhsa_system_sgpr_workgroup_id_y 0
		.amdhsa_system_sgpr_workgroup_id_z 0
		.amdhsa_system_sgpr_workgroup_info 0
		.amdhsa_system_vgpr_workitem_id 0
		.amdhsa_next_free_vgpr 55
		.amdhsa_next_free_sgpr 68
		.amdhsa_accum_offset 56
		.amdhsa_reserve_vcc 1
		.amdhsa_reserve_flat_scratch 0
		.amdhsa_float_round_mode_32 0
		.amdhsa_float_round_mode_16_64 0
		.amdhsa_float_denorm_mode_32 3
		.amdhsa_float_denorm_mode_16_64 3
		.amdhsa_dx10_clamp 1
		.amdhsa_ieee_mode 1
		.amdhsa_fp16_overflow 0
		.amdhsa_tg_split 0
		.amdhsa_exception_fp_ieee_invalid_op 0
		.amdhsa_exception_fp_denorm_src 0
		.amdhsa_exception_fp_ieee_div_zero 0
		.amdhsa_exception_fp_ieee_overflow 0
		.amdhsa_exception_fp_ieee_underflow 0
		.amdhsa_exception_fp_ieee_inexact 0
		.amdhsa_exception_int_div_zero 0
	.end_amdhsa_kernel
	.section	.text._Z26kgemm_4bit_inference_naiveI12hip_bfloat16Li128ELi16EEviiiPT_PhPfPKfS2_iiii,"axG",@progbits,_Z26kgemm_4bit_inference_naiveI12hip_bfloat16Li128ELi16EEviiiPT_PhPfPKfS2_iiii,comdat
.Lfunc_end29:
	.size	_Z26kgemm_4bit_inference_naiveI12hip_bfloat16Li128ELi16EEviiiPT_PhPfPKfS2_iiii, .Lfunc_end29-_Z26kgemm_4bit_inference_naiveI12hip_bfloat16Li128ELi16EEviiiPT_PhPfPKfS2_iiii
                                        ; -- End function
	.section	.AMDGPU.csdata,"",@progbits
; Kernel info:
; codeLenInByte = 9908
; NumSgprs: 72
; NumVgprs: 55
; NumAgprs: 0
; TotalNumVgprs: 55
; ScratchSize: 0
; MemoryBound: 0
; FloatMode: 240
; IeeeMode: 1
; LDSByteSize: 32 bytes/workgroup (compile time only)
; SGPRBlocks: 8
; VGPRBlocks: 6
; NumSGPRsForWavesPerEU: 72
; NumVGPRsForWavesPerEU: 55
; AccumOffset: 56
; Occupancy: 8
; WaveLimiterHint : 0
; COMPUTE_PGM_RSRC2:SCRATCH_EN: 0
; COMPUTE_PGM_RSRC2:USER_SGPR: 6
; COMPUTE_PGM_RSRC2:TRAP_HANDLER: 0
; COMPUTE_PGM_RSRC2:TGID_X_EN: 1
; COMPUTE_PGM_RSRC2:TGID_Y_EN: 0
; COMPUTE_PGM_RSRC2:TGID_Z_EN: 0
; COMPUTE_PGM_RSRC2:TIDIG_COMP_CNT: 0
; COMPUTE_PGM_RSRC3_GFX90A:ACCUM_OFFSET: 13
; COMPUTE_PGM_RSRC3_GFX90A:TG_SPLIT: 0
	.section	.text._Z26kgemm_4bit_inference_naiveIfLi128ELi32EEviiiPT_PhPfPKfS1_iiii,"axG",@progbits,_Z26kgemm_4bit_inference_naiveIfLi128ELi32EEviiiPT_PhPfPKfS1_iiii,comdat
